;; amdgpu-corpus repo=ROCm/hip-tests kind=compiled arch=gfx1250 opt=O3
	.amdgcn_target "amdgcn-amd-amdhsa--gfx1250"
	.amdhsa_code_object_version 6
	.section	.text._ZL31kernel_cg_multi_grid_group_typePiS_S_S_S_S_S_,"axG",@progbits,_ZL31kernel_cg_multi_grid_group_typePiS_S_S_S_S_S_,comdat
	.globl	_ZL31kernel_cg_multi_grid_group_typePiS_S_S_S_S_S_ ; -- Begin function _ZL31kernel_cg_multi_grid_group_typePiS_S_S_S_S_S_
	.p2align	8
	.type	_ZL31kernel_cg_multi_grid_group_typePiS_S_S_S_S_S_,@function
_ZL31kernel_cg_multi_grid_group_typePiS_S_S_S_S_S_: ; @_ZL31kernel_cg_multi_grid_group_typePiS_S_S_S_S_S_
; %bb.0:
	s_clause 0x1
	s_load_b64 s[24:25], s[0:1], 0x90
	s_load_b32 s27, s[0:1], 0x44
	s_bfe_u32 s4, ttmp6, 0x4000c
	s_and_b32 s28, ttmp6, 15
	s_add_co_i32 s29, s4, 1
	s_getreg_b32 s26, hwreg(HW_REG_IB_STS2, 6, 4)
	v_and_b32_e32 v1, 0x3ff, v0
	s_load_b256 s[12:19], s[0:1], 0x0
	s_wait_kmcnt 0x0
	s_clause 0x1
	s_load_b64 s[2:3], s[24:25], 0x8
	s_load_b128 s[20:23], s[24:25], 0x10
	s_load_b256 s[4:11], s[0:1], 0x20
	s_wait_kmcnt 0x0
	s_mul_i32 s10, ttmp9, s29
	s_add_nc_u64 s[0:1], s[0:1], 56
	s_add_co_i32 s28, s28, s10
	s_cmp_eq_u32 s26, 0
	s_cselect_b32 s10, ttmp9, s28
	s_and_b32 s21, s27, 0xffff
	s_delay_alu instid0(SALU_CYCLE_1) | instskip(NEXT) | instid1(VALU_DEP_1)
	v_mad_u32 v2, s10, s21, v1
	v_dual_mov_b32 v6, s22 :: v_dual_ashrrev_i32 v3, 31, v2
	v_dual_mov_b32 v4, s3 :: v_dual_mov_b32 v5, s2
	s_clause 0x2
	global_store_b32 v2, v4, s[8:9] scale_offset
	global_store_b32 v2, v5, s[12:13] scale_offset
	;; [unrolled: 1-line block ×3, first 2 shown]
	s_clause 0x1
	s_load_b32 s11, s[0:1], 0x40
	s_load_b32 s8, s[0:1], 0x0
	s_wait_kmcnt 0x0
	s_and_b32 s9, s11, 0xffff
	s_delay_alu instid0(SALU_CYCLE_1) | instskip(NEXT) | instid1(SALU_CYCLE_1)
	s_sext_i32_i16 s12, s9
	s_cmp_lt_i32 s12, 2
	s_cbranch_scc1 .LBB0_5
; %bb.1:
	s_sext_i32_i16 s11, s11
	s_delay_alu instid0(SALU_CYCLE_1)
	s_cmp_lt_i32 s11, 3
	s_cbranch_scc1 .LBB0_6
; %bb.2:
	v_mov_b64_e32 v[4:5], 0
	s_cmp_eq_u32 s9, 3
	s_cbranch_scc0 .LBB0_4
; %bb.3:
	v_mov_b32_e32 v5, 0
	s_bfe_u32 s13, ttmp6, 0x40014
	s_bfe_u32 s22, ttmp6, 0x40010
	s_lshr_b32 s12, ttmp7, 16
	s_and_b32 s15, ttmp7, 0xffff
	global_load_b32 v4, v5, s[0:1] offset:14
	s_load_b32 s11, s[0:1], 0x4
	s_add_co_i32 s13, s13, 1
	s_add_co_i32 s22, s22, 1
	s_bfe_u32 s14, ttmp6, 0x40008
	s_bfe_u32 s23, ttmp6, 0x40004
	s_mul_i32 s13, s12, s13
	s_mul_i32 s22, s15, s22
	v_bfe_u32 v6, v0, 10, 10
	v_bfe_u32 v7, v0, 20, 10
	s_add_co_i32 s14, s14, s13
	s_add_co_i32 s23, s23, s22
	s_cmp_eq_u32 s26, 0
	s_cselect_b32 s13, s15, s23
	s_cselect_b32 s12, s12, s14
	s_wait_loadcnt 0x0
	v_and_b32_e32 v8, 0xffff, v4
	v_lshrrev_b32_e32 v9, 16, v4
	s_wait_kmcnt 0x0
	s_delay_alu instid0(VALU_DEP_2) | instskip(SKIP_1) | instid1(VALU_DEP_3)
	v_mul_lo_u32 v10, s11, v8
	v_mad_u32 v4, s13, v8, v6
	v_mad_u32 v6, s12, v9, v7
	s_mul_i32 s11, s8, s21
	s_delay_alu instid0(VALU_DEP_1) | instskip(SKIP_1) | instid1(VALU_DEP_1)
	v_mad_nc_u64_u32 v[6:7], v6, v10, v[4:5]
	v_mov_b32_e32 v4, v2
	v_mad_nc_u64_u32 v[4:5], v6, s11, v[4:5]
.LBB0_4:
	s_cbranch_execz .LBB0_7
	s_branch .LBB0_8
.LBB0_5:
                                        ; implicit-def: $vgpr4_vgpr5
	s_branch .LBB0_9
.LBB0_6:
                                        ; implicit-def: $vgpr4_vgpr5
.LBB0_7:
	s_clause 0x1
	s_load_u16 s11, s[0:1], 0x12
	s_load_u16 s12, s[0:1], 0xe
	s_wait_xcnt 0x0
	s_bfe_u32 s0, ttmp6, 0x40010
	s_and_b32 s1, ttmp7, 0xffff
	s_add_co_i32 s0, s0, 1
	s_bfe_u32 s13, ttmp6, 0x40004
	s_mul_i32 s0, s1, s0
	s_mul_i32 s14, s8, s21
	s_add_co_i32 s13, s13, s0
	v_bfe_u32 v4, v0, 10, 10
	v_mov_b32_e32 v5, 0
	s_wait_kmcnt 0x0
	s_add_co_i32 s14, s14, s11
	s_cmp_eq_u32 s26, 0
	s_cselect_b32 s0, s1, s13
	s_delay_alu instid0(SALU_CYCLE_1) | instskip(SKIP_1) | instid1(VALU_DEP_1)
	v_mad_u32 v6, s0, s12, v4
	v_mov_b32_e32 v4, v2
	v_mad_nc_u64_u32 v[4:5], v6, s14, v[4:5]
.LBB0_8:
	s_cbranch_execnz .LBB0_11
.LBB0_9:
	v_mov_b64_e32 v[4:5], 0
	s_cmp_lg_u32 s9, 1
	s_cbranch_scc1 .LBB0_11
; %bb.10:
	v_mov_b64_e32 v[4:5], v[2:3]
.LBB0_11:
	v_lshlrev_b64_e32 v[2:3], 2, v[2:3]
	s_cmp_lg_u64 s[24:25], 0
	s_delay_alu instid0(VALU_DEP_2) | instskip(SKIP_3) | instid1(VALU_DEP_2)
	v_add_nc_u32_e32 v10, s20, v4
	s_cselect_b32 s0, -1, 0
	s_cmp_lg_u32 s3, 0
	s_cselect_b32 s1, -1, 0
	v_add_nc_u64_e32 v[4:5], s[16:17], v[2:3]
	v_add_nc_u64_e32 v[6:7], s[18:19], v[2:3]
	s_and_b32 s0, s0, s1
	v_add_nc_u64_e32 v[8:9], s[4:5], v[2:3]
	v_bfe_u32 v3, v0, 10, 10
	v_bfe_u32 v0, v0, 20, 10
	v_cndmask_b32_e64 v11, 0, 1, s0
	s_bfe_u32 s0, ttmp6, 0x40010
	s_and_b32 s9, ttmp7, 0xffff
	s_add_co_i32 s0, s0, 1
	s_bfe_u32 s12, ttmp6, 0x40014
	v_mov_b32_e32 v2, 1
	global_store_b32 v[4:5], v10, off
	global_store_b32 v[6:7], v11, off
	s_wait_xcnt 0x1
	v_or3_b32 v4, v1, v3, v0
	s_mul_i32 s0, s9, s0
	s_bfe_u32 s1, ttmp6, 0x40004
	s_lshr_b32 s11, ttmp7, 16
	s_add_co_i32 s12, s12, 1
	s_add_co_i32 s13, s1, s0
	s_mul_i32 s0, s11, s12
	s_bfe_u32 s1, ttmp6, 0x40008
	global_store_b32 v[8:9], v2, off
	s_add_co_i32 s1, s1, s0
	v_cmp_eq_u32_e64 s0, 0, v4
	s_cmp_eq_u32 s26, 0
	s_wait_storecnt 0x0
	s_cselect_b32 s1, s11, s1
	s_cselect_b32 s11, s9, s13
	s_barrier_signal -1
	s_barrier_wait -1
	s_wait_xcnt 0x0
	s_and_saveexec_b32 s9, s0
	s_cbranch_execz .LBB0_21
; %bb.12:
	v_mov_b32_e32 v5, 0
	global_wb scope:SCOPE_DEV
	s_wait_storecnt 0x0
	s_mov_b32 s12, exec_lo
	s_mov_b32 s13, exec_lo
	global_load_b32 v2, v5, s[24:25] offset:40
	v_mbcnt_lo_u32_b32 v4, s12, 0
                                        ; implicit-def: $vgpr6
	s_wait_xcnt 0x0
	s_delay_alu instid0(VALU_DEP_1)
	v_cmpx_eq_u32_e32 0, v4
	s_cbranch_execz .LBB0_14
; %bb.13:
	s_bcnt1_i32_b32 s12, s12
	s_delay_alu instid0(SALU_CYCLE_1)
	v_mov_b32_e32 v6, s12
	global_atomic_add_u32 v6, v5, v6, s[24:25] offset:32 th:TH_ATOMIC_RETURN scope:SCOPE_DEV
.LBB0_14:
	s_wait_xcnt 0x0
	s_or_b32 exec_lo, exec_lo, s13
	s_wait_loadcnt 0x0
	v_readfirstlane_b32 s12, v6
	s_delay_alu instid0(VALU_DEP_1) | instskip(SKIP_1) | instid1(VALU_DEP_1)
	v_dual_add_nc_u32 v6, -1, v2 :: v_dual_add_nc_u32 v4, s12, v4
	s_mov_b32 s12, exec_lo
	v_and_b32_e32 v5, 0xffff, v4
	s_delay_alu instid0(VALU_DEP_1)
	v_cmpx_eq_u32_e64 v5, v6
	s_cbranch_execz .LBB0_17
; %bb.15:
	s_mov_b32 s13, exec_lo
	s_delay_alu instid0(SALU_CYCLE_1) | instskip(NEXT) | instid1(VALU_DEP_1)
	v_mbcnt_lo_u32_b32 v5, s13, 0
	v_cmp_eq_u32_e32 vcc_lo, 0, v5
	s_and_b32 s14, exec_lo, vcc_lo
	s_delay_alu instid0(SALU_CYCLE_1)
	s_mov_b32 exec_lo, s14
	s_cbranch_execz .LBB0_17
; %bb.16:
	v_dual_mov_b32 v5, 0 :: v_dual_sub_nc_u32 v2, 0x10000, v2
	s_bcnt1_i32_b32 s13, s13
	s_delay_alu instid0(VALU_DEP_1) | instid1(SALU_CYCLE_1)
	v_mul_lo_u32 v2, v2, s13
	global_atomic_add_u32 v5, v2, s[24:25] offset:32 scope:SCOPE_DEV
.LBB0_17:
	s_wait_xcnt 0x0
	s_or_b32 exec_lo, exec_lo, s12
	v_mov_b32_e32 v2, 0
	v_and_b32_e32 v4, 0xffff0000, v4
	global_load_b32 v5, v2, s[24:25] offset:32 scope:SCOPE_DEV
	s_wait_loadcnt 0x0
	v_and_b32_e32 v5, 0xffff0000, v5
	s_delay_alu instid0(VALU_DEP_1)
	v_cmp_eq_u32_e32 vcc_lo, v5, v4
	s_wait_xcnt 0x0
	s_and_b32 exec_lo, exec_lo, vcc_lo
	s_cbranch_execz .LBB0_20
; %bb.18:
	s_mov_b32 s12, 0
.LBB0_19:                               ; =>This Inner Loop Header: Depth=1
	s_sleep 1
	global_load_b32 v5, v2, s[24:25] offset:32 scope:SCOPE_DEV
	s_wait_loadcnt 0x0
	v_and_b32_e32 v5, 0xffff0000, v5
	s_delay_alu instid0(VALU_DEP_1)
	v_cmp_ne_u32_e32 vcc_lo, v5, v4
	s_or_b32 s12, vcc_lo, s12
	s_wait_xcnt 0x0
	s_and_not1_b32 exec_lo, exec_lo, s12
	s_cbranch_execnz .LBB0_19
.LBB0_20:
	s_wait_storecnt 0x0
	global_inv scope:SCOPE_DEV
	s_wait_loadcnt 0x0
.LBB0_21:
	s_or_b32 exec_lo, exec_lo, s9
	v_or_b32_e32 v2, s10, v1
	s_mov_b32 s12, exec_lo
	s_barrier_signal -1
	s_barrier_wait -1
	s_delay_alu instid0(VALU_DEP_1)
	v_cmpx_eq_u32_e32 0, v2
	s_cbranch_execz .LBB0_32
; %bb.22:
	v_mov_b32_e32 v4, 0
	s_mul_i32 s13, s8, s21
	s_delay_alu instid0(SALU_CYCLE_1)
	s_cmp_lt_u32 s13, 2
	global_load_b32 v4, v4, s[4:5]
	s_cbranch_scc1 .LBB0_31
; %bb.23:
	s_cmp_lt_u32 s13, 5
	s_cbranch_scc1 .LBB0_27
; %bb.24:
	s_add_co_i32 s14, s13, -1
	v_dual_mov_b32 v7, 0 :: v_dual_mov_b32 v6, 0
	v_dual_mov_b32 v5, 0 :: v_dual_mov_b32 v8, 0
	s_and_b32 s15, s14, -4
	s_add_nc_u64 s[8:9], s[4:5], 12
	s_mov_b32 s16, s15
.LBB0_25:                               ; =>This Inner Loop Header: Depth=1
	global_load_b128 v[10:13], v7, s[8:9] offset:-8
	s_add_co_i32 s16, s16, -4
	s_wait_xcnt 0x0
	s_add_nc_u64 s[8:9], s[8:9], 16
	s_cmp_lg_u32 s16, 0
	s_wait_loadcnt 0x0
	v_dual_add_nc_u32 v8, v8, v11 :: v_dual_add_nc_u32 v6, v6, v13
	v_dual_add_nc_u32 v4, v4, v10 :: v_dual_add_nc_u32 v5, v5, v12
	s_cbranch_scc1 .LBB0_25
; %bb.26:
	s_delay_alu instid0(VALU_DEP_2) | instskip(NEXT) | instid1(VALU_DEP_2)
	v_add_nc_u32_e32 v6, v6, v8
	v_add_nc_u32_e32 v4, v5, v4
	s_or_b32 s8, s15, 1
	s_cmp_lg_u32 s14, s15
	s_cselect_b32 s9, -1, 0
	s_delay_alu instid0(VALU_DEP_1)
	v_add_nc_u32_e32 v4, v4, v6
	s_and_b32 vcc_lo, exec_lo, s9
	s_cbranch_vccnz .LBB0_28
	s_branch .LBB0_30
.LBB0_27:
	s_mov_b32 s8, 1
	s_cbranch_execz .LBB0_30
.LBB0_28:
	s_mov_b32 s9, 0
	v_mov_b32_e32 v5, 0
	s_lshl_b64 s[14:15], s[8:9], 2
	s_sub_co_i32 s13, s13, s8
	s_add_nc_u64 s[8:9], s[4:5], s[14:15]
.LBB0_29:                               ; =>This Inner Loop Header: Depth=1
	global_load_b32 v6, v5, s[8:9]
	s_add_co_i32 s13, s13, -1
	s_wait_xcnt 0x0
	s_add_nc_u64 s[8:9], s[8:9], 4
	s_cmp_eq_u32 s13, 0
	s_wait_loadcnt 0x0
	v_add_nc_u32_e32 v4, v4, v6
	s_cbranch_scc0 .LBB0_29
.LBB0_30:
	v_mov_b32_e32 v5, 0
	s_wait_loadcnt 0x0
	global_store_b32 v5, v4, s[4:5]
.LBB0_31:
	s_wait_xcnt 0x0
	s_add_co_i32 s4, s2, 1
	s_delay_alu instid0(SALU_CYCLE_1)
	v_mov_b32_e32 v5, s4
	s_wait_loadcnt 0x0
	global_store_b32 v5, v4, s[6:7] scale_offset
.LBB0_32:
	s_wait_xcnt 0x0
	s_or_b32 exec_lo, exec_lo, s12
	v_mov_b32_e32 v4, 0
	global_wb scope:SCOPE_SYS
	s_wait_storecnt 0x0
	global_inv scope:SCOPE_SYS
	s_barrier_signal -1
	s_barrier_wait -1
	global_load_b32 v4, v4, s[24:25] offset:40
	s_wait_loadcnt 0x0
	v_readfirstlane_b32 s4, v4
	s_and_saveexec_b32 s5, s0
	s_cbranch_execz .LBB0_41
; %bb.33:
	s_mov_b32 s9, exec_lo
	s_mov_b32 s8, exec_lo
	v_mbcnt_lo_u32_b32 v4, s9, 0
                                        ; implicit-def: $vgpr5
	s_delay_alu instid0(VALU_DEP_1)
	v_cmpx_eq_u32_e32 0, v4
	s_cbranch_execz .LBB0_35
; %bb.34:
	s_bcnt1_i32_b32 s9, s9
	s_delay_alu instid0(SALU_CYCLE_1)
	v_dual_mov_b32 v5, 0 :: v_dual_mov_b32 v6, s9
	global_atomic_add_u32 v5, v5, v6, s[24:25] offset:32 th:TH_ATOMIC_RETURN scope:SCOPE_DEV
.LBB0_35:
	s_wait_xcnt 0x0
	s_or_b32 exec_lo, exec_lo, s8
	s_wait_loadcnt 0x0
	v_readfirstlane_b32 s8, v5
	s_delay_alu instid0(VALU_DEP_1) | instskip(SKIP_1) | instid1(VALU_DEP_1)
	v_add_nc_u32_e32 v4, s8, v4
	s_add_co_i32 s8, s4, -1
	v_and_b32_e32 v5, 0xffff, v4
	s_delay_alu instid0(VALU_DEP_1)
	v_cmp_eq_u32_e32 vcc_lo, s8, v5
	s_and_saveexec_b32 s8, vcc_lo
	s_cbranch_execz .LBB0_38
; %bb.36:
	s_mov_b32 s9, exec_lo
	s_delay_alu instid0(SALU_CYCLE_1) | instskip(NEXT) | instid1(VALU_DEP_1)
	v_mbcnt_lo_u32_b32 v5, s9, 0
	v_cmp_eq_u32_e32 vcc_lo, 0, v5
	s_and_b32 s12, exec_lo, vcc_lo
	s_delay_alu instid0(SALU_CYCLE_1)
	s_mov_b32 exec_lo, s12
	s_cbranch_execz .LBB0_38
; %bb.37:
	s_sub_co_i32 s12, 0x10000, s4
	s_bcnt1_i32_b32 s9, s9
	s_delay_alu instid0(SALU_CYCLE_1) | instskip(NEXT) | instid1(SALU_CYCLE_1)
	s_mul_i32 s9, s12, s9
	v_dual_mov_b32 v5, 0 :: v_dual_mov_b32 v6, s9
	global_atomic_add_u32 v5, v6, s[24:25] offset:32 scope:SCOPE_DEV
.LBB0_38:
	s_wait_xcnt 0x0
	s_or_b32 exec_lo, exec_lo, s8
	v_mov_b32_e32 v5, 0
	v_and_b32_e32 v4, 0xffff0000, v4
	global_load_b32 v6, v5, s[24:25] offset:32 scope:SCOPE_DEV
	s_wait_loadcnt 0x0
	v_and_b32_e32 v6, 0xffff0000, v6
	s_delay_alu instid0(VALU_DEP_1)
	v_cmp_eq_u32_e32 vcc_lo, v6, v4
	s_wait_xcnt 0x0
	s_and_b32 exec_lo, exec_lo, vcc_lo
	s_cbranch_execz .LBB0_41
; %bb.39:
	s_mov_b32 s8, 0
.LBB0_40:                               ; =>This Inner Loop Header: Depth=1
	s_sleep 1
	global_load_b32 v6, v5, s[24:25] offset:32 scope:SCOPE_DEV
	s_wait_loadcnt 0x0
	v_and_b32_e32 v6, 0xffff0000, v6
	s_delay_alu instid0(VALU_DEP_1)
	v_cmp_ne_u32_e32 vcc_lo, v6, v4
	s_or_b32 s8, vcc_lo, s8
	s_wait_xcnt 0x0
	s_and_not1_b32 exec_lo, exec_lo, s8
	s_cbranch_execnz .LBB0_40
.LBB0_41:
	s_or_b32 exec_lo, exec_lo, s5
	s_or_b32 s1, s11, s1
	s_delay_alu instid0(SALU_CYCLE_1) | instskip(SKIP_1) | instid1(VALU_DEP_1)
	v_or3_b32 v1, s1, s10, v1
	s_mov_b32 s1, exec_lo
	v_or3_b32 v0, v1, v3, v0
	s_delay_alu instid0(VALU_DEP_1)
	v_cmpx_eq_u32_e32 0, v0
	s_cbranch_execz .LBB0_51
; %bb.42:
	v_mov_b32_e32 v4, 0
	s_mov_b32 s5, exec_lo
	s_mov_b32 s8, exec_lo
                                        ; implicit-def: $vgpr5
	s_clause 0x1
	global_load_b64 v[0:1], v4, s[24:25]
	global_load_b32 v3, v4, s[24:25] offset:12
	s_wait_xcnt 0x0
	v_mbcnt_lo_u32_b32 v4, s5, 0
	s_delay_alu instid0(VALU_DEP_1)
	v_cmpx_eq_u32_e32 0, v4
	s_cbranch_execz .LBB0_44
; %bb.43:
	s_bcnt1_i32_b32 s5, s5
	s_delay_alu instid0(SALU_CYCLE_1)
	v_mov_b32_e32 v5, s5
	s_wait_loadcnt 0x1
	global_atomic_add_u32 v5, v[0:1], v5, off th:TH_ATOMIC_RETURN scope:SCOPE_SYS
.LBB0_44:
	s_wait_xcnt 0x0
	s_or_b32 exec_lo, exec_lo, s8
	s_wait_loadcnt 0x0
	v_readfirstlane_b32 s5, v5
	s_delay_alu instid0(VALU_DEP_1) | instskip(SKIP_1) | instid1(VALU_DEP_1)
	v_dual_add_nc_u32 v6, -1, v3 :: v_dual_add_nc_u32 v4, s5, v4
	s_mov_b32 s5, exec_lo
	v_and_b32_e32 v5, 0xff, v4
	s_delay_alu instid0(VALU_DEP_1)
	v_cmpx_ne_u32_e64 v5, v6
	s_xor_b32 s5, exec_lo, s5
	s_cbranch_execz .LBB0_48
; %bb.45:
	s_mov_b32 s8, 0
.LBB0_46:                               ; =>This Inner Loop Header: Depth=1
	s_sleep 2
	global_load_b32 v3, v[0:1], off scope:SCOPE_SYS
	s_wait_loadcnt 0x0
	v_xor_b32_e32 v3, v3, v4
	s_delay_alu instid0(VALU_DEP_1)
	v_cmp_lt_u32_e32 vcc_lo, 0xff, v3
	s_or_b32 s8, vcc_lo, s8
	s_wait_xcnt 0x0
	s_and_not1_b32 exec_lo, exec_lo, s8
	s_cbranch_execnz .LBB0_46
; %bb.47:
	s_or_b32 exec_lo, exec_lo, s8
                                        ; implicit-def: $vgpr3
                                        ; implicit-def: $vgpr0_vgpr1
.LBB0_48:
	s_and_not1_saveexec_b32 s5, s5
	s_cbranch_execz .LBB0_51
; %bb.49:
	s_mov_b32 s5, exec_lo
	s_delay_alu instid0(SALU_CYCLE_1) | instskip(NEXT) | instid1(VALU_DEP_1)
	v_mbcnt_lo_u32_b32 v4, s5, 0
	v_cmp_eq_u32_e32 vcc_lo, 0, v4
	s_and_b32 s8, exec_lo, vcc_lo
	s_delay_alu instid0(SALU_CYCLE_1)
	s_mov_b32 exec_lo, s8
	s_cbranch_execz .LBB0_51
; %bb.50:
	v_sub_nc_u32_e32 v3, 0x100, v3
	s_bcnt1_i32_b32 s5, s5
	s_delay_alu instid0(VALU_DEP_1) | instid1(SALU_CYCLE_1)
	v_mul_lo_u32 v3, v3, s5
	global_atomic_add_u32 v[0:1], v3, off scope:SCOPE_SYS
.LBB0_51:
	s_wait_xcnt 0x0
	s_or_b32 exec_lo, exec_lo, s1
	s_and_saveexec_b32 s1, s0
	s_cbranch_execz .LBB0_60
; %bb.52:
	s_mov_b32 s5, exec_lo
	s_mov_b32 s0, exec_lo
	v_mbcnt_lo_u32_b32 v0, s5, 0
                                        ; implicit-def: $vgpr1
	s_delay_alu instid0(VALU_DEP_1)
	v_cmpx_eq_u32_e32 0, v0
	s_cbranch_execz .LBB0_54
; %bb.53:
	s_bcnt1_i32_b32 s5, s5
	s_delay_alu instid0(SALU_CYCLE_1)
	v_dual_mov_b32 v1, 0 :: v_dual_mov_b32 v3, s5
	global_atomic_add_u32 v1, v1, v3, s[24:25] offset:32 th:TH_ATOMIC_RETURN scope:SCOPE_DEV
.LBB0_54:
	s_wait_xcnt 0x0
	s_or_b32 exec_lo, exec_lo, s0
	s_wait_loadcnt 0x0
	v_readfirstlane_b32 s0, v1
	s_delay_alu instid0(VALU_DEP_1) | instskip(SKIP_1) | instid1(VALU_DEP_1)
	v_add_nc_u32_e32 v0, s0, v0
	s_add_co_i32 s0, s4, -1
	v_and_b32_e32 v1, 0xffff, v0
	s_delay_alu instid0(VALU_DEP_1)
	v_cmp_eq_u32_e32 vcc_lo, s0, v1
	s_and_saveexec_b32 s0, vcc_lo
	s_cbranch_execz .LBB0_57
; %bb.55:
	s_mov_b32 s5, exec_lo
	s_delay_alu instid0(SALU_CYCLE_1) | instskip(NEXT) | instid1(VALU_DEP_1)
	v_mbcnt_lo_u32_b32 v1, s5, 0
	v_cmp_eq_u32_e32 vcc_lo, 0, v1
	s_and_b32 s8, exec_lo, vcc_lo
	s_delay_alu instid0(SALU_CYCLE_1)
	s_mov_b32 exec_lo, s8
	s_cbranch_execz .LBB0_57
; %bb.56:
	s_sub_co_i32 s4, 0x10000, s4
	s_bcnt1_i32_b32 s5, s5
	s_delay_alu instid0(SALU_CYCLE_1) | instskip(NEXT) | instid1(SALU_CYCLE_1)
	s_mul_i32 s4, s4, s5
	v_dual_mov_b32 v1, 0 :: v_dual_mov_b32 v3, s4
	global_atomic_add_u32 v1, v3, s[24:25] offset:32 scope:SCOPE_DEV
.LBB0_57:
	s_wait_xcnt 0x0
	s_or_b32 exec_lo, exec_lo, s0
	v_mov_b32_e32 v1, 0
	v_and_b32_e32 v0, 0xffff0000, v0
	global_load_b32 v3, v1, s[24:25] offset:32 scope:SCOPE_DEV
	s_wait_loadcnt 0x0
	v_and_b32_e32 v3, 0xffff0000, v3
	s_delay_alu instid0(VALU_DEP_1)
	v_cmp_eq_u32_e32 vcc_lo, v3, v0
	s_wait_xcnt 0x0
	s_and_b32 exec_lo, exec_lo, vcc_lo
	s_cbranch_execz .LBB0_60
; %bb.58:
	s_mov_b32 s0, 0
.LBB0_59:                               ; =>This Inner Loop Header: Depth=1
	s_sleep 1
	global_load_b32 v3, v1, s[24:25] offset:32 scope:SCOPE_DEV
	s_wait_loadcnt 0x0
	v_and_b32_e32 v3, 0xffff0000, v3
	s_delay_alu instid0(VALU_DEP_1)
	v_cmp_ne_u32_e32 vcc_lo, v3, v0
	s_or_b32 s0, vcc_lo, s0
	s_wait_xcnt 0x0
	s_and_not1_b32 exec_lo, exec_lo, s0
	s_cbranch_execnz .LBB0_59
.LBB0_60:
	s_or_b32 exec_lo, exec_lo, s1
	v_or_b32_e32 v0, s2, v2
	s_barrier_signal -1
	s_barrier_wait -1
	s_mov_b32 s0, exec_lo
	s_delay_alu instid0(VALU_DEP_1)
	v_cmpx_eq_u32_e32 0, v0
	s_cbranch_execz .LBB0_70
; %bb.61:
	v_mov_b32_e32 v0, 0
	s_cmp_eq_u32 s3, 0
	global_store_b32 v0, v0, s[6:7]
	s_cbranch_scc1 .LBB0_70
; %bb.62:
	s_add_co_i32 s0, s3, 1
	s_delay_alu instid0(SALU_CYCLE_1)
	s_max_u32 s2, s0, 2
	s_cmp_lt_u32 s0, 5
	s_mov_b32 s0, 1
	s_cbranch_scc1 .LBB0_66
; %bb.63:
	s_add_co_i32 s3, s2, -1
	s_wait_xcnt 0x0
	v_dual_mov_b32 v3, 0 :: v_dual_mov_b32 v0, 0
	v_dual_mov_b32 v2, 0 :: v_dual_mov_b32 v1, 0
	v_mov_b32_e32 v4, 0
	s_and_b32 s4, s3, -4
	s_add_nc_u64 s[0:1], s[6:7], 12
	s_mov_b32 s5, s4
.LBB0_64:                               ; =>This Inner Loop Header: Depth=1
	global_load_b128 v[6:9], v3, s[0:1] offset:-8
	s_add_co_i32 s5, s5, -4
	s_wait_xcnt 0x0
	s_add_nc_u64 s[0:1], s[0:1], 16
	s_cmp_lg_u32 s5, 0
	s_wait_loadcnt 0x0
	v_dual_add_nc_u32 v4, v4, v7 :: v_dual_add_nc_u32 v2, v2, v9
	v_dual_add_nc_u32 v0, v0, v6 :: v_dual_add_nc_u32 v1, v1, v8
	s_cbranch_scc1 .LBB0_64
; %bb.65:
	s_delay_alu instid0(VALU_DEP_2) | instskip(NEXT) | instid1(VALU_DEP_2)
	v_add_nc_u32_e32 v2, v2, v4
	v_add_nc_u32_e32 v0, v1, v0
	s_or_b32 s0, s4, 1
	s_cmp_lg_u32 s3, s4
	s_cselect_b32 s1, -1, 0
	s_delay_alu instid0(VALU_DEP_1)
	v_add_nc_u32_e32 v0, v0, v2
	s_and_b32 vcc_lo, exec_lo, s1
	s_cbranch_vccnz .LBB0_67
	s_branch .LBB0_69
.LBB0_66:
	s_cbranch_execz .LBB0_69
.LBB0_67:
	s_mov_b32 s1, 0
	v_mov_b32_e32 v1, 0
	s_lshl_b64 s[4:5], s[0:1], 2
	s_sub_co_i32 s2, s2, s0
	s_add_nc_u64 s[0:1], s[6:7], s[4:5]
.LBB0_68:                               ; =>This Inner Loop Header: Depth=1
	global_load_b32 v2, v1, s[0:1]
	s_add_co_i32 s2, s2, -1
	s_wait_xcnt 0x0
	s_add_nc_u64 s[0:1], s[0:1], 4
	s_cmp_lg_u32 s2, 0
	s_wait_loadcnt 0x0
	v_add_nc_u32_e32 v0, v0, v2
	s_cbranch_scc1 .LBB0_68
.LBB0_69:
	v_mov_b32_e32 v1, 0
	global_store_b32 v1, v0, s[6:7]
.LBB0_70:
	s_endpgm
	.section	.rodata,"a",@progbits
	.p2align	6, 0x0
	.amdhsa_kernel _ZL31kernel_cg_multi_grid_group_typePiS_S_S_S_S_S_
		.amdhsa_group_segment_fixed_size 0
		.amdhsa_private_segment_fixed_size 0
		.amdhsa_kernarg_size 312
		.amdhsa_user_sgpr_count 2
		.amdhsa_user_sgpr_dispatch_ptr 0
		.amdhsa_user_sgpr_queue_ptr 0
		.amdhsa_user_sgpr_kernarg_segment_ptr 1
		.amdhsa_user_sgpr_dispatch_id 0
		.amdhsa_user_sgpr_kernarg_preload_length 0
		.amdhsa_user_sgpr_kernarg_preload_offset 0
		.amdhsa_user_sgpr_private_segment_size 0
		.amdhsa_wavefront_size32 1
		.amdhsa_uses_dynamic_stack 0
		.amdhsa_enable_private_segment 0
		.amdhsa_system_sgpr_workgroup_id_x 1
		.amdhsa_system_sgpr_workgroup_id_y 1
		.amdhsa_system_sgpr_workgroup_id_z 1
		.amdhsa_system_sgpr_workgroup_info 0
		.amdhsa_system_vgpr_workitem_id 2
		.amdhsa_next_free_vgpr 14
		.amdhsa_next_free_sgpr 30
		.amdhsa_named_barrier_count 0
		.amdhsa_reserve_vcc 1
		.amdhsa_float_round_mode_32 0
		.amdhsa_float_round_mode_16_64 0
		.amdhsa_float_denorm_mode_32 3
		.amdhsa_float_denorm_mode_16_64 3
		.amdhsa_fp16_overflow 0
		.amdhsa_memory_ordered 1
		.amdhsa_forward_progress 1
		.amdhsa_inst_pref_size 23
		.amdhsa_round_robin_scheduling 0
		.amdhsa_exception_fp_ieee_invalid_op 0
		.amdhsa_exception_fp_denorm_src 0
		.amdhsa_exception_fp_ieee_div_zero 0
		.amdhsa_exception_fp_ieee_overflow 0
		.amdhsa_exception_fp_ieee_underflow 0
		.amdhsa_exception_fp_ieee_inexact 0
		.amdhsa_exception_int_div_zero 0
	.end_amdhsa_kernel
	.section	.text._ZL31kernel_cg_multi_grid_group_typePiS_S_S_S_S_S_,"axG",@progbits,_ZL31kernel_cg_multi_grid_group_typePiS_S_S_S_S_S_,comdat
.Lfunc_end0:
	.size	_ZL31kernel_cg_multi_grid_group_typePiS_S_S_S_S_S_, .Lfunc_end0-_ZL31kernel_cg_multi_grid_group_typePiS_S_S_S_S_S_
                                        ; -- End function
	.set _ZL31kernel_cg_multi_grid_group_typePiS_S_S_S_S_S_.num_vgpr, 14
	.set _ZL31kernel_cg_multi_grid_group_typePiS_S_S_S_S_S_.num_agpr, 0
	.set _ZL31kernel_cg_multi_grid_group_typePiS_S_S_S_S_S_.numbered_sgpr, 30
	.set _ZL31kernel_cg_multi_grid_group_typePiS_S_S_S_S_S_.num_named_barrier, 0
	.set _ZL31kernel_cg_multi_grid_group_typePiS_S_S_S_S_S_.private_seg_size, 0
	.set _ZL31kernel_cg_multi_grid_group_typePiS_S_S_S_S_S_.uses_vcc, 1
	.set _ZL31kernel_cg_multi_grid_group_typePiS_S_S_S_S_S_.uses_flat_scratch, 0
	.set _ZL31kernel_cg_multi_grid_group_typePiS_S_S_S_S_S_.has_dyn_sized_stack, 0
	.set _ZL31kernel_cg_multi_grid_group_typePiS_S_S_S_S_S_.has_recursion, 0
	.set _ZL31kernel_cg_multi_grid_group_typePiS_S_S_S_S_S_.has_indirect_call, 0
	.section	.AMDGPU.csdata,"",@progbits
; Kernel info:
; codeLenInByte = 2888
; TotalNumSgprs: 32
; NumVgprs: 14
; ScratchSize: 0
; MemoryBound: 0
; FloatMode: 240
; IeeeMode: 1
; LDSByteSize: 0 bytes/workgroup (compile time only)
; SGPRBlocks: 0
; VGPRBlocks: 0
; NumSGPRsForWavesPerEU: 32
; NumVGPRsForWavesPerEU: 14
; NamedBarCnt: 0
; Occupancy: 16
; WaveLimiterHint : 1
; COMPUTE_PGM_RSRC2:SCRATCH_EN: 0
; COMPUTE_PGM_RSRC2:USER_SGPR: 2
; COMPUTE_PGM_RSRC2:TRAP_HANDLER: 0
; COMPUTE_PGM_RSRC2:TGID_X_EN: 1
; COMPUTE_PGM_RSRC2:TGID_Y_EN: 1
; COMPUTE_PGM_RSRC2:TGID_Z_EN: 1
; COMPUTE_PGM_RSRC2:TIDIG_COMP_CNT: 2
	.section	.text._ZL45kernel_cg_multi_grid_group_type_via_base_typePiS_S_S_S_S_,"axG",@progbits,_ZL45kernel_cg_multi_grid_group_type_via_base_typePiS_S_S_S_S_,comdat
	.globl	_ZL45kernel_cg_multi_grid_group_type_via_base_typePiS_S_S_S_S_ ; -- Begin function _ZL45kernel_cg_multi_grid_group_type_via_base_typePiS_S_S_S_S_
	.p2align	8
	.type	_ZL45kernel_cg_multi_grid_group_type_via_base_typePiS_S_S_S_S_,@function
_ZL45kernel_cg_multi_grid_group_type_via_base_typePiS_S_S_S_S_: ; @_ZL45kernel_cg_multi_grid_group_type_via_base_typePiS_S_S_S_S_
; %bb.0:
	s_clause 0x1
	s_load_b64 s[2:3], s[0:1], 0x88
	s_load_b32 s22, s[0:1], 0x3c
	s_bfe_u32 s4, ttmp6, 0x4000c
	s_and_b32 s12, ttmp6, 15
	s_add_co_i32 s13, s4, 1
	s_load_b256 s[4:11], s[0:1], 0x0
	s_mul_i32 s13, ttmp9, s13
	s_getreg_b32 s21, hwreg(HW_REG_IB_STS2, 6, 4)
	v_and_b32_e32 v1, 0x3ff, v0
	s_wait_kmcnt 0x0
	s_clause 0x1
	s_load_b32 s20, s[2:3], 0x8
	s_load_b128 s[16:19], s[2:3], 0x10
	s_wait_kmcnt 0x0
	s_add_co_i32 s17, s12, s13
	s_cmp_eq_u32 s21, 0
	s_load_b128 s[12:15], s[0:1], 0x20
	s_cselect_b32 s17, ttmp9, s17
	s_and_b32 s19, s22, 0xffff
	s_wait_xcnt 0x0
	s_add_nc_u64 s[0:1], s[0:1], 48
	v_mad_u32 v2, s17, s19, v1
	s_delay_alu instid0(VALU_DEP_1)
	v_dual_ashrrev_i32 v3, 31, v2 :: v_dual_mov_b32 v5, s20
	v_mov_b32_e32 v4, s18
	s_clause 0x1
	global_store_b32 v2, v4, s[6:7] scale_offset
	global_store_b32 v2, v5, s[4:5] scale_offset
	s_wait_xcnt 0x1
	s_clause 0x1
	s_load_b32 s6, s[0:1], 0x40
	s_load_b32 s4, s[0:1], 0x0
	s_wait_kmcnt 0x0
	s_and_b32 s5, s6, 0xffff
	s_delay_alu instid0(SALU_CYCLE_1) | instskip(NEXT) | instid1(SALU_CYCLE_1)
	s_sext_i32_i16 s7, s5
	s_cmp_lt_i32 s7, 2
	s_cbranch_scc1 .LBB1_5
; %bb.1:
	s_sext_i32_i16 s6, s6
	s_delay_alu instid0(SALU_CYCLE_1)
	s_cmp_lt_i32 s6, 3
	s_cbranch_scc1 .LBB1_6
; %bb.2:
	v_mov_b64_e32 v[4:5], 0
	s_cmp_eq_u32 s5, 3
	s_cbranch_scc0 .LBB1_4
; %bb.3:
	v_mov_b32_e32 v5, 0
	s_bfe_u32 s18, ttmp6, 0x40014
	s_bfe_u32 s24, ttmp6, 0x40010
	s_lshr_b32 s7, ttmp7, 16
	s_and_b32 s23, ttmp7, 0xffff
	global_load_b32 v4, v5, s[0:1] offset:14
	s_load_b32 s6, s[0:1], 0x4
	s_add_co_i32 s18, s18, 1
	s_add_co_i32 s24, s24, 1
	s_bfe_u32 s22, ttmp6, 0x40008
	s_bfe_u32 s25, ttmp6, 0x40004
	s_mul_i32 s18, s7, s18
	s_mul_i32 s24, s23, s24
	v_bfe_u32 v6, v0, 10, 10
	v_bfe_u32 v7, v0, 20, 10
	s_add_co_i32 s22, s22, s18
	s_add_co_i32 s25, s25, s24
	s_cmp_eq_u32 s21, 0
	s_cselect_b32 s18, s23, s25
	s_cselect_b32 s7, s7, s22
	s_wait_loadcnt 0x0
	v_and_b32_e32 v8, 0xffff, v4
	v_lshrrev_b32_e32 v9, 16, v4
	s_wait_kmcnt 0x0
	s_delay_alu instid0(VALU_DEP_2) | instskip(SKIP_1) | instid1(VALU_DEP_3)
	v_mul_lo_u32 v10, s6, v8
	v_mad_u32 v4, s18, v8, v6
	v_mad_u32 v6, s7, v9, v7
	s_mul_i32 s6, s4, s19
	s_delay_alu instid0(VALU_DEP_1) | instskip(SKIP_1) | instid1(VALU_DEP_1)
	v_mad_nc_u64_u32 v[6:7], v6, v10, v[4:5]
	v_mov_b32_e32 v4, v2
	v_mad_nc_u64_u32 v[4:5], v6, s6, v[4:5]
.LBB1_4:
	s_cbranch_execz .LBB1_7
	s_branch .LBB1_8
.LBB1_5:
                                        ; implicit-def: $vgpr4_vgpr5
	s_branch .LBB1_9
.LBB1_6:
                                        ; implicit-def: $vgpr4_vgpr5
.LBB1_7:
	s_clause 0x1
	s_load_u16 s6, s[0:1], 0x12
	s_load_u16 s7, s[0:1], 0xe
	s_wait_xcnt 0x0
	s_bfe_u32 s0, ttmp6, 0x40010
	s_and_b32 s1, ttmp7, 0xffff
	s_add_co_i32 s0, s0, 1
	s_bfe_u32 s18, ttmp6, 0x40004
	s_mul_i32 s0, s1, s0
	s_mul_i32 s22, s4, s19
	s_add_co_i32 s18, s18, s0
	v_bfe_u32 v4, v0, 10, 10
	v_mov_b32_e32 v5, 0
	s_wait_kmcnt 0x0
	s_add_co_i32 s22, s22, s6
	s_cmp_eq_u32 s21, 0
	s_cselect_b32 s0, s1, s18
	s_delay_alu instid0(SALU_CYCLE_1) | instskip(SKIP_1) | instid1(VALU_DEP_1)
	v_mad_u32 v6, s0, s7, v4
	v_mov_b32_e32 v4, v2
	v_mad_nc_u64_u32 v[4:5], v6, s22, v[4:5]
.LBB1_8:
	s_cbranch_execnz .LBB1_11
.LBB1_9:
	v_mov_b64_e32 v[4:5], 0
	s_cmp_lg_u32 s5, 1
	s_cbranch_scc1 .LBB1_11
; %bb.10:
	v_mov_b64_e32 v[4:5], v[2:3]
.LBB1_11:
	s_delay_alu instid0(VALU_DEP_1)
	v_add_nc_u32_e32 v6, s16, v4
	v_lshl_add_u64 v[4:5], v[2:3], 2, s[8:9]
	s_cmp_eq_u64 s[2:3], 0
	global_store_b32 v[4:5], v6, off
	s_cbranch_scc1 .LBB1_13
; %bb.12:
	s_load_b32 s0, s[2:3], 0xc
	s_wait_kmcnt 0x0
	s_cmp_lg_u32 s0, 0
	s_cselect_b32 s0, -1, 0
	s_delay_alu instid0(SALU_CYCLE_1)
	v_cndmask_b32_e64 v4, 0, 1, s0
	s_branch .LBB1_14
.LBB1_13:
	s_wait_xcnt 0x0
	v_mov_b32_e32 v4, 0
.LBB1_14:
	v_lshlrev_b64_e32 v[6:7], 2, v[2:3]
	v_bfe_u32 v3, v0, 10, 10
	v_bfe_u32 v0, v0, 20, 10
	s_bfe_u32 s0, ttmp6, 0x40010
	s_and_b32 s5, ttmp7, 0xffff
	s_bfe_u32 s7, ttmp6, 0x40014
	s_add_co_i32 s0, s0, 1
	v_add_nc_u64_e32 v[8:9], s[10:11], v[6:7]
	s_bfe_u32 s1, ttmp6, 0x40004
	s_lshr_b32 s6, ttmp7, 16
	s_add_co_i32 s7, s7, 1
	s_mul_i32 s0, s5, s0
	v_add_nc_u64_e32 v[6:7], s[12:13], v[6:7]
	s_add_co_i32 s8, s1, s0
	global_store_b32 v[8:9], v4, off
	s_wait_xcnt 0x0
	v_or3_b32 v4, v1, v3, v0
	s_mul_i32 s0, s6, s7
	s_bfe_u32 s1, ttmp6, 0x40008
	v_mov_b32_e32 v2, 1
	s_add_co_i32 s1, s1, s0
	v_cmp_eq_u32_e64 s0, 0, v4
	s_cmp_eq_u32 s21, 0
	s_cselect_b32 s1, s6, s1
	s_cselect_b32 s6, s5, s8
	global_store_b32 v[6:7], v2, off
	s_wait_storecnt 0x0
	s_barrier_signal -1
	s_barrier_wait -1
	s_wait_xcnt 0x0
	s_and_saveexec_b32 s5, s0
	s_cbranch_execz .LBB1_24
; %bb.15:
	v_mov_b32_e32 v5, 0
	global_wb scope:SCOPE_DEV
	s_wait_storecnt 0x0
	s_mov_b32 s7, exec_lo
	s_mov_b32 s8, exec_lo
	global_load_b32 v2, v5, s[2:3] offset:40
	v_mbcnt_lo_u32_b32 v4, s7, 0
                                        ; implicit-def: $vgpr6
	s_wait_xcnt 0x0
	s_delay_alu instid0(VALU_DEP_1)
	v_cmpx_eq_u32_e32 0, v4
	s_cbranch_execz .LBB1_17
; %bb.16:
	s_bcnt1_i32_b32 s7, s7
	s_delay_alu instid0(SALU_CYCLE_1)
	v_mov_b32_e32 v6, s7
	global_atomic_add_u32 v6, v5, v6, s[2:3] offset:32 th:TH_ATOMIC_RETURN scope:SCOPE_DEV
.LBB1_17:
	s_wait_xcnt 0x0
	s_or_b32 exec_lo, exec_lo, s8
	s_wait_loadcnt 0x0
	v_readfirstlane_b32 s7, v6
	s_delay_alu instid0(VALU_DEP_1) | instskip(SKIP_1) | instid1(VALU_DEP_1)
	v_dual_add_nc_u32 v6, -1, v2 :: v_dual_add_nc_u32 v4, s7, v4
	s_mov_b32 s7, exec_lo
	v_and_b32_e32 v5, 0xffff, v4
	s_delay_alu instid0(VALU_DEP_1)
	v_cmpx_eq_u32_e64 v5, v6
	s_cbranch_execz .LBB1_20
; %bb.18:
	s_mov_b32 s8, exec_lo
	s_delay_alu instid0(SALU_CYCLE_1) | instskip(NEXT) | instid1(VALU_DEP_1)
	v_mbcnt_lo_u32_b32 v5, s8, 0
	v_cmp_eq_u32_e32 vcc_lo, 0, v5
	s_and_b32 s9, exec_lo, vcc_lo
	s_delay_alu instid0(SALU_CYCLE_1)
	s_mov_b32 exec_lo, s9
	s_cbranch_execz .LBB1_20
; %bb.19:
	v_dual_mov_b32 v5, 0 :: v_dual_sub_nc_u32 v2, 0x10000, v2
	s_bcnt1_i32_b32 s8, s8
	s_delay_alu instid0(VALU_DEP_1) | instid1(SALU_CYCLE_1)
	v_mul_lo_u32 v2, v2, s8
	global_atomic_add_u32 v5, v2, s[2:3] offset:32 scope:SCOPE_DEV
.LBB1_20:
	s_wait_xcnt 0x0
	s_or_b32 exec_lo, exec_lo, s7
	v_mov_b32_e32 v2, 0
	v_and_b32_e32 v4, 0xffff0000, v4
	global_load_b32 v5, v2, s[2:3] offset:32 scope:SCOPE_DEV
	s_wait_loadcnt 0x0
	v_and_b32_e32 v5, 0xffff0000, v5
	s_delay_alu instid0(VALU_DEP_1)
	v_cmp_eq_u32_e32 vcc_lo, v5, v4
	s_wait_xcnt 0x0
	s_and_b32 exec_lo, exec_lo, vcc_lo
	s_cbranch_execz .LBB1_23
; %bb.21:
	s_mov_b32 s7, 0
.LBB1_22:                               ; =>This Inner Loop Header: Depth=1
	s_sleep 1
	global_load_b32 v5, v2, s[2:3] offset:32 scope:SCOPE_DEV
	s_wait_loadcnt 0x0
	v_and_b32_e32 v5, 0xffff0000, v5
	s_delay_alu instid0(VALU_DEP_1)
	v_cmp_ne_u32_e32 vcc_lo, v5, v4
	s_or_b32 s7, vcc_lo, s7
	s_wait_xcnt 0x0
	s_and_not1_b32 exec_lo, exec_lo, s7
	s_cbranch_execnz .LBB1_22
.LBB1_23:
	s_wait_storecnt 0x0
	global_inv scope:SCOPE_DEV
	s_wait_loadcnt 0x0
.LBB1_24:
	s_or_b32 exec_lo, exec_lo, s5
	v_or_b32_e32 v2, s17, v1
	s_mov_b32 s7, exec_lo
	s_barrier_signal -1
	s_barrier_wait -1
	s_delay_alu instid0(VALU_DEP_1)
	v_cmpx_eq_u32_e32 0, v2
	s_cbranch_execz .LBB1_35
; %bb.25:
	v_mov_b32_e32 v4, 0
	s_mul_i32 s8, s4, s19
	s_delay_alu instid0(SALU_CYCLE_1)
	s_cmp_lt_u32 s8, 2
	global_load_b32 v4, v4, s[12:13]
	s_cbranch_scc1 .LBB1_34
; %bb.26:
	s_cmp_lt_u32 s8, 5
	s_cbranch_scc1 .LBB1_30
; %bb.27:
	s_add_co_i32 s9, s8, -1
	v_dual_mov_b32 v7, 0 :: v_dual_mov_b32 v6, 0
	v_dual_mov_b32 v5, 0 :: v_dual_mov_b32 v8, 0
	s_and_b32 s10, s9, -4
	s_add_nc_u64 s[4:5], s[12:13], 12
	s_mov_b32 s11, s10
.LBB1_28:                               ; =>This Inner Loop Header: Depth=1
	global_load_b128 v[10:13], v7, s[4:5] offset:-8
	s_add_co_i32 s11, s11, -4
	s_wait_xcnt 0x0
	s_add_nc_u64 s[4:5], s[4:5], 16
	s_cmp_lg_u32 s11, 0
	s_wait_loadcnt 0x0
	v_dual_add_nc_u32 v8, v8, v11 :: v_dual_add_nc_u32 v6, v6, v13
	v_dual_add_nc_u32 v4, v4, v10 :: v_dual_add_nc_u32 v5, v5, v12
	s_cbranch_scc1 .LBB1_28
; %bb.29:
	s_delay_alu instid0(VALU_DEP_2) | instskip(NEXT) | instid1(VALU_DEP_2)
	v_add_nc_u32_e32 v6, v6, v8
	v_add_nc_u32_e32 v4, v5, v4
	s_or_b32 s4, s10, 1
	s_cmp_lg_u32 s9, s10
	s_cselect_b32 s5, -1, 0
	s_delay_alu instid0(VALU_DEP_1)
	v_add_nc_u32_e32 v4, v4, v6
	s_and_b32 vcc_lo, exec_lo, s5
	s_cbranch_vccnz .LBB1_31
	s_branch .LBB1_33
.LBB1_30:
	s_mov_b32 s4, 1
	s_cbranch_execz .LBB1_33
.LBB1_31:
	s_mov_b32 s5, 0
	v_mov_b32_e32 v5, 0
	s_lshl_b64 s[10:11], s[4:5], 2
	s_sub_co_i32 s8, s8, s4
	s_add_nc_u64 s[4:5], s[12:13], s[10:11]
.LBB1_32:                               ; =>This Inner Loop Header: Depth=1
	global_load_b32 v6, v5, s[4:5]
	s_add_co_i32 s8, s8, -1
	s_wait_xcnt 0x0
	s_add_nc_u64 s[4:5], s[4:5], 4
	s_cmp_eq_u32 s8, 0
	s_wait_loadcnt 0x0
	v_add_nc_u32_e32 v4, v4, v6
	s_cbranch_scc0 .LBB1_32
.LBB1_33:
	v_mov_b32_e32 v5, 0
	s_wait_loadcnt 0x0
	global_store_b32 v5, v4, s[12:13]
.LBB1_34:
	s_add_co_i32 s4, s20, 1
	s_wait_xcnt 0x0
	v_mov_b32_e32 v5, s4
	s_wait_loadcnt 0x0
	global_store_b32 v5, v4, s[14:15] scale_offset
.LBB1_35:
	s_wait_xcnt 0x0
	s_or_b32 exec_lo, exec_lo, s7
	v_mov_b32_e32 v4, 0
	global_wb scope:SCOPE_SYS
	s_wait_storecnt 0x0
	global_inv scope:SCOPE_SYS
	s_barrier_signal -1
	s_barrier_wait -1
	global_load_b32 v4, v4, s[2:3] offset:40
	s_wait_loadcnt 0x0
	v_readfirstlane_b32 s4, v4
	s_and_saveexec_b32 s5, s0
	s_cbranch_execz .LBB1_44
; %bb.36:
	s_mov_b32 s8, exec_lo
	s_mov_b32 s7, exec_lo
	v_mbcnt_lo_u32_b32 v4, s8, 0
                                        ; implicit-def: $vgpr5
	s_delay_alu instid0(VALU_DEP_1)
	v_cmpx_eq_u32_e32 0, v4
	s_cbranch_execz .LBB1_38
; %bb.37:
	s_bcnt1_i32_b32 s8, s8
	s_delay_alu instid0(SALU_CYCLE_1)
	v_dual_mov_b32 v5, 0 :: v_dual_mov_b32 v6, s8
	global_atomic_add_u32 v5, v5, v6, s[2:3] offset:32 th:TH_ATOMIC_RETURN scope:SCOPE_DEV
.LBB1_38:
	s_wait_xcnt 0x0
	s_or_b32 exec_lo, exec_lo, s7
	s_wait_loadcnt 0x0
	v_readfirstlane_b32 s7, v5
	s_delay_alu instid0(VALU_DEP_1) | instskip(SKIP_1) | instid1(VALU_DEP_1)
	v_add_nc_u32_e32 v4, s7, v4
	s_add_co_i32 s7, s4, -1
	v_and_b32_e32 v5, 0xffff, v4
	s_delay_alu instid0(VALU_DEP_1)
	v_cmp_eq_u32_e32 vcc_lo, s7, v5
	s_and_saveexec_b32 s7, vcc_lo
	s_cbranch_execz .LBB1_41
; %bb.39:
	s_mov_b32 s8, exec_lo
	s_delay_alu instid0(SALU_CYCLE_1) | instskip(NEXT) | instid1(VALU_DEP_1)
	v_mbcnt_lo_u32_b32 v5, s8, 0
	v_cmp_eq_u32_e32 vcc_lo, 0, v5
	s_and_b32 s9, exec_lo, vcc_lo
	s_delay_alu instid0(SALU_CYCLE_1)
	s_mov_b32 exec_lo, s9
	s_cbranch_execz .LBB1_41
; %bb.40:
	s_sub_co_i32 s9, 0x10000, s4
	s_bcnt1_i32_b32 s8, s8
	s_delay_alu instid0(SALU_CYCLE_1) | instskip(NEXT) | instid1(SALU_CYCLE_1)
	s_mul_i32 s8, s9, s8
	v_dual_mov_b32 v5, 0 :: v_dual_mov_b32 v6, s8
	global_atomic_add_u32 v5, v6, s[2:3] offset:32 scope:SCOPE_DEV
.LBB1_41:
	s_wait_xcnt 0x0
	s_or_b32 exec_lo, exec_lo, s7
	v_mov_b32_e32 v5, 0
	v_and_b32_e32 v4, 0xffff0000, v4
	global_load_b32 v6, v5, s[2:3] offset:32 scope:SCOPE_DEV
	s_wait_loadcnt 0x0
	v_and_b32_e32 v6, 0xffff0000, v6
	s_delay_alu instid0(VALU_DEP_1)
	v_cmp_eq_u32_e32 vcc_lo, v6, v4
	s_wait_xcnt 0x0
	s_and_b32 exec_lo, exec_lo, vcc_lo
	s_cbranch_execz .LBB1_44
; %bb.42:
	s_mov_b32 s7, 0
.LBB1_43:                               ; =>This Inner Loop Header: Depth=1
	s_sleep 1
	global_load_b32 v6, v5, s[2:3] offset:32 scope:SCOPE_DEV
	s_wait_loadcnt 0x0
	v_and_b32_e32 v6, 0xffff0000, v6
	s_delay_alu instid0(VALU_DEP_1)
	v_cmp_ne_u32_e32 vcc_lo, v6, v4
	s_or_b32 s7, vcc_lo, s7
	s_wait_xcnt 0x0
	s_and_not1_b32 exec_lo, exec_lo, s7
	s_cbranch_execnz .LBB1_43
.LBB1_44:
	s_or_b32 exec_lo, exec_lo, s5
	s_or_b32 s1, s6, s1
	s_delay_alu instid0(SALU_CYCLE_1) | instskip(SKIP_1) | instid1(VALU_DEP_1)
	v_or3_b32 v1, s1, s17, v1
	s_mov_b32 s1, exec_lo
	v_or3_b32 v0, v1, v3, v0
	s_delay_alu instid0(VALU_DEP_1)
	v_cmpx_eq_u32_e32 0, v0
	s_cbranch_execz .LBB1_54
; %bb.45:
	v_mov_b32_e32 v4, 0
	s_mov_b32 s5, exec_lo
	s_mov_b32 s6, exec_lo
                                        ; implicit-def: $vgpr5
	s_clause 0x1
	global_load_b64 v[0:1], v4, s[2:3]
	global_load_b32 v3, v4, s[2:3] offset:12
	s_wait_xcnt 0x0
	v_mbcnt_lo_u32_b32 v4, s5, 0
	s_delay_alu instid0(VALU_DEP_1)
	v_cmpx_eq_u32_e32 0, v4
	s_cbranch_execz .LBB1_47
; %bb.46:
	s_bcnt1_i32_b32 s5, s5
	s_delay_alu instid0(SALU_CYCLE_1)
	v_mov_b32_e32 v5, s5
	s_wait_loadcnt 0x1
	global_atomic_add_u32 v5, v[0:1], v5, off th:TH_ATOMIC_RETURN scope:SCOPE_SYS
.LBB1_47:
	s_wait_xcnt 0x0
	s_or_b32 exec_lo, exec_lo, s6
	s_wait_loadcnt 0x0
	v_readfirstlane_b32 s5, v5
	s_delay_alu instid0(VALU_DEP_1) | instskip(SKIP_1) | instid1(VALU_DEP_1)
	v_dual_add_nc_u32 v6, -1, v3 :: v_dual_add_nc_u32 v4, s5, v4
	s_mov_b32 s5, exec_lo
	v_and_b32_e32 v5, 0xff, v4
	s_delay_alu instid0(VALU_DEP_1)
	v_cmpx_ne_u32_e64 v5, v6
	s_xor_b32 s5, exec_lo, s5
	s_cbranch_execz .LBB1_51
; %bb.48:
	s_mov_b32 s6, 0
.LBB1_49:                               ; =>This Inner Loop Header: Depth=1
	s_sleep 2
	global_load_b32 v3, v[0:1], off scope:SCOPE_SYS
	s_wait_loadcnt 0x0
	v_xor_b32_e32 v3, v3, v4
	s_delay_alu instid0(VALU_DEP_1)
	v_cmp_lt_u32_e32 vcc_lo, 0xff, v3
	s_or_b32 s6, vcc_lo, s6
	s_wait_xcnt 0x0
	s_and_not1_b32 exec_lo, exec_lo, s6
	s_cbranch_execnz .LBB1_49
; %bb.50:
	s_or_b32 exec_lo, exec_lo, s6
                                        ; implicit-def: $vgpr3
                                        ; implicit-def: $vgpr0_vgpr1
.LBB1_51:
	s_and_not1_saveexec_b32 s5, s5
	s_cbranch_execz .LBB1_54
; %bb.52:
	s_mov_b32 s5, exec_lo
	s_delay_alu instid0(SALU_CYCLE_1) | instskip(NEXT) | instid1(VALU_DEP_1)
	v_mbcnt_lo_u32_b32 v4, s5, 0
	v_cmp_eq_u32_e32 vcc_lo, 0, v4
	s_and_b32 s6, exec_lo, vcc_lo
	s_delay_alu instid0(SALU_CYCLE_1)
	s_mov_b32 exec_lo, s6
	s_cbranch_execz .LBB1_54
; %bb.53:
	v_sub_nc_u32_e32 v3, 0x100, v3
	s_bcnt1_i32_b32 s5, s5
	s_delay_alu instid0(VALU_DEP_1) | instid1(SALU_CYCLE_1)
	v_mul_lo_u32 v3, v3, s5
	global_atomic_add_u32 v[0:1], v3, off scope:SCOPE_SYS
.LBB1_54:
	s_wait_xcnt 0x0
	s_or_b32 exec_lo, exec_lo, s1
	s_and_saveexec_b32 s1, s0
	s_cbranch_execz .LBB1_63
; %bb.55:
	s_mov_b32 s5, exec_lo
	s_mov_b32 s0, exec_lo
	v_mbcnt_lo_u32_b32 v0, s5, 0
                                        ; implicit-def: $vgpr1
	s_delay_alu instid0(VALU_DEP_1)
	v_cmpx_eq_u32_e32 0, v0
	s_cbranch_execz .LBB1_57
; %bb.56:
	s_bcnt1_i32_b32 s5, s5
	s_delay_alu instid0(SALU_CYCLE_1)
	v_dual_mov_b32 v1, 0 :: v_dual_mov_b32 v3, s5
	global_atomic_add_u32 v1, v1, v3, s[2:3] offset:32 th:TH_ATOMIC_RETURN scope:SCOPE_DEV
.LBB1_57:
	s_wait_xcnt 0x0
	s_or_b32 exec_lo, exec_lo, s0
	s_wait_loadcnt 0x0
	v_readfirstlane_b32 s0, v1
	s_delay_alu instid0(VALU_DEP_1) | instskip(SKIP_1) | instid1(VALU_DEP_1)
	v_add_nc_u32_e32 v0, s0, v0
	s_add_co_i32 s0, s4, -1
	v_and_b32_e32 v1, 0xffff, v0
	s_delay_alu instid0(VALU_DEP_1)
	v_cmp_eq_u32_e32 vcc_lo, s0, v1
	s_and_saveexec_b32 s0, vcc_lo
	s_cbranch_execz .LBB1_60
; %bb.58:
	s_mov_b32 s5, exec_lo
	s_delay_alu instid0(SALU_CYCLE_1) | instskip(NEXT) | instid1(VALU_DEP_1)
	v_mbcnt_lo_u32_b32 v1, s5, 0
	v_cmp_eq_u32_e32 vcc_lo, 0, v1
	s_and_b32 s6, exec_lo, vcc_lo
	s_delay_alu instid0(SALU_CYCLE_1)
	s_mov_b32 exec_lo, s6
	s_cbranch_execz .LBB1_60
; %bb.59:
	s_sub_co_i32 s4, 0x10000, s4
	s_bcnt1_i32_b32 s5, s5
	s_delay_alu instid0(SALU_CYCLE_1) | instskip(NEXT) | instid1(SALU_CYCLE_1)
	s_mul_i32 s4, s4, s5
	v_dual_mov_b32 v1, 0 :: v_dual_mov_b32 v3, s4
	global_atomic_add_u32 v1, v3, s[2:3] offset:32 scope:SCOPE_DEV
.LBB1_60:
	s_wait_xcnt 0x0
	s_or_b32 exec_lo, exec_lo, s0
	v_mov_b32_e32 v1, 0
	v_and_b32_e32 v0, 0xffff0000, v0
	global_load_b32 v3, v1, s[2:3] offset:32 scope:SCOPE_DEV
	s_wait_loadcnt 0x0
	v_and_b32_e32 v3, 0xffff0000, v3
	s_delay_alu instid0(VALU_DEP_1)
	v_cmp_eq_u32_e32 vcc_lo, v3, v0
	s_wait_xcnt 0x0
	s_and_b32 exec_lo, exec_lo, vcc_lo
	s_cbranch_execz .LBB1_63
; %bb.61:
	s_mov_b32 s0, 0
.LBB1_62:                               ; =>This Inner Loop Header: Depth=1
	s_sleep 1
	global_load_b32 v3, v1, s[2:3] offset:32 scope:SCOPE_DEV
	s_wait_loadcnt 0x0
	v_and_b32_e32 v3, 0xffff0000, v3
	s_delay_alu instid0(VALU_DEP_1)
	v_cmp_ne_u32_e32 vcc_lo, v3, v0
	s_or_b32 s0, vcc_lo, s0
	s_wait_xcnt 0x0
	s_and_not1_b32 exec_lo, exec_lo, s0
	s_cbranch_execnz .LBB1_62
.LBB1_63:
	s_or_b32 exec_lo, exec_lo, s1
	v_or_b32_e32 v0, s20, v2
	s_barrier_signal -1
	s_barrier_wait -1
	s_mov_b32 s0, exec_lo
	s_delay_alu instid0(VALU_DEP_1)
	v_cmpx_eq_u32_e32 0, v0
	s_cbranch_execz .LBB1_73
; %bb.64:
	v_mov_b32_e32 v0, 0
	global_store_b32 v0, v0, s[14:15]
	s_load_b32 s0, s[2:3], 0xc
	s_wait_kmcnt 0x0
	s_cmp_eq_u32 s0, 0
	s_cbranch_scc1 .LBB1_73
; %bb.65:
	s_add_co_i32 s0, s0, 1
	s_delay_alu instid0(SALU_CYCLE_1)
	s_max_u32 s2, s0, 2
	s_cmp_lt_u32 s0, 5
	s_mov_b32 s0, 1
	s_cbranch_scc1 .LBB1_69
; %bb.66:
	s_add_co_i32 s3, s2, -1
	v_dual_mov_b32 v3, 0 :: v_dual_mov_b32 v0, 0
	v_dual_mov_b32 v2, 0 :: v_dual_mov_b32 v1, 0
	v_mov_b32_e32 v4, 0
	s_and_b32 s4, s3, -4
	s_add_nc_u64 s[0:1], s[14:15], 12
	s_mov_b32 s5, s4
.LBB1_67:                               ; =>This Inner Loop Header: Depth=1
	global_load_b128 v[6:9], v3, s[0:1] offset:-8
	s_add_co_i32 s5, s5, -4
	s_wait_xcnt 0x0
	s_add_nc_u64 s[0:1], s[0:1], 16
	s_cmp_lg_u32 s5, 0
	s_wait_loadcnt 0x0
	v_dual_add_nc_u32 v4, v4, v7 :: v_dual_add_nc_u32 v2, v2, v9
	v_dual_add_nc_u32 v0, v0, v6 :: v_dual_add_nc_u32 v1, v1, v8
	s_cbranch_scc1 .LBB1_67
; %bb.68:
	s_delay_alu instid0(VALU_DEP_2) | instskip(NEXT) | instid1(VALU_DEP_2)
	v_add_nc_u32_e32 v2, v2, v4
	v_add_nc_u32_e32 v0, v1, v0
	s_or_b32 s0, s4, 1
	s_cmp_lg_u32 s3, s4
	s_cselect_b32 s1, -1, 0
	s_delay_alu instid0(VALU_DEP_1)
	v_add_nc_u32_e32 v0, v0, v2
	s_and_b32 vcc_lo, exec_lo, s1
	s_cbranch_vccnz .LBB1_70
	s_branch .LBB1_72
.LBB1_69:
	s_cbranch_execz .LBB1_72
.LBB1_70:
	s_mov_b32 s1, 0
	v_mov_b32_e32 v1, 0
	s_lshl_b64 s[4:5], s[0:1], 2
	s_sub_co_i32 s2, s2, s0
	s_add_nc_u64 s[0:1], s[14:15], s[4:5]
.LBB1_71:                               ; =>This Inner Loop Header: Depth=1
	global_load_b32 v2, v1, s[0:1]
	s_add_co_i32 s2, s2, -1
	s_wait_xcnt 0x0
	s_add_nc_u64 s[0:1], s[0:1], 4
	s_cmp_lg_u32 s2, 0
	s_wait_loadcnt 0x0
	v_add_nc_u32_e32 v0, v0, v2
	s_cbranch_scc1 .LBB1_71
.LBB1_72:
	v_mov_b32_e32 v1, 0
	global_store_b32 v1, v0, s[14:15]
.LBB1_73:
	s_endpgm
	.section	.rodata,"a",@progbits
	.p2align	6, 0x0
	.amdhsa_kernel _ZL45kernel_cg_multi_grid_group_type_via_base_typePiS_S_S_S_S_
		.amdhsa_group_segment_fixed_size 0
		.amdhsa_private_segment_fixed_size 0
		.amdhsa_kernarg_size 304
		.amdhsa_user_sgpr_count 2
		.amdhsa_user_sgpr_dispatch_ptr 0
		.amdhsa_user_sgpr_queue_ptr 0
		.amdhsa_user_sgpr_kernarg_segment_ptr 1
		.amdhsa_user_sgpr_dispatch_id 0
		.amdhsa_user_sgpr_kernarg_preload_length 0
		.amdhsa_user_sgpr_kernarg_preload_offset 0
		.amdhsa_user_sgpr_private_segment_size 0
		.amdhsa_wavefront_size32 1
		.amdhsa_uses_dynamic_stack 0
		.amdhsa_enable_private_segment 0
		.amdhsa_system_sgpr_workgroup_id_x 1
		.amdhsa_system_sgpr_workgroup_id_y 1
		.amdhsa_system_sgpr_workgroup_id_z 1
		.amdhsa_system_sgpr_workgroup_info 0
		.amdhsa_system_vgpr_workitem_id 2
		.amdhsa_next_free_vgpr 14
		.amdhsa_next_free_sgpr 26
		.amdhsa_named_barrier_count 0
		.amdhsa_reserve_vcc 1
		.amdhsa_float_round_mode_32 0
		.amdhsa_float_round_mode_16_64 0
		.amdhsa_float_denorm_mode_32 3
		.amdhsa_float_denorm_mode_16_64 3
		.amdhsa_fp16_overflow 0
		.amdhsa_memory_ordered 1
		.amdhsa_forward_progress 1
		.amdhsa_inst_pref_size 23
		.amdhsa_round_robin_scheduling 0
		.amdhsa_exception_fp_ieee_invalid_op 0
		.amdhsa_exception_fp_denorm_src 0
		.amdhsa_exception_fp_ieee_div_zero 0
		.amdhsa_exception_fp_ieee_overflow 0
		.amdhsa_exception_fp_ieee_underflow 0
		.amdhsa_exception_fp_ieee_inexact 0
		.amdhsa_exception_int_div_zero 0
	.end_amdhsa_kernel
	.section	.text._ZL45kernel_cg_multi_grid_group_type_via_base_typePiS_S_S_S_S_,"axG",@progbits,_ZL45kernel_cg_multi_grid_group_type_via_base_typePiS_S_S_S_S_,comdat
.Lfunc_end1:
	.size	_ZL45kernel_cg_multi_grid_group_type_via_base_typePiS_S_S_S_S_, .Lfunc_end1-_ZL45kernel_cg_multi_grid_group_type_via_base_typePiS_S_S_S_S_
                                        ; -- End function
	.set _ZL45kernel_cg_multi_grid_group_type_via_base_typePiS_S_S_S_S_.num_vgpr, 14
	.set _ZL45kernel_cg_multi_grid_group_type_via_base_typePiS_S_S_S_S_.num_agpr, 0
	.set _ZL45kernel_cg_multi_grid_group_type_via_base_typePiS_S_S_S_S_.numbered_sgpr, 26
	.set _ZL45kernel_cg_multi_grid_group_type_via_base_typePiS_S_S_S_S_.num_named_barrier, 0
	.set _ZL45kernel_cg_multi_grid_group_type_via_base_typePiS_S_S_S_S_.private_seg_size, 0
	.set _ZL45kernel_cg_multi_grid_group_type_via_base_typePiS_S_S_S_S_.uses_vcc, 1
	.set _ZL45kernel_cg_multi_grid_group_type_via_base_typePiS_S_S_S_S_.uses_flat_scratch, 0
	.set _ZL45kernel_cg_multi_grid_group_type_via_base_typePiS_S_S_S_S_.has_dyn_sized_stack, 0
	.set _ZL45kernel_cg_multi_grid_group_type_via_base_typePiS_S_S_S_S_.has_recursion, 0
	.set _ZL45kernel_cg_multi_grid_group_type_via_base_typePiS_S_S_S_S_.has_indirect_call, 0
	.section	.AMDGPU.csdata,"",@progbits
; Kernel info:
; codeLenInByte = 2916
; TotalNumSgprs: 28
; NumVgprs: 14
; ScratchSize: 0
; MemoryBound: 0
; FloatMode: 240
; IeeeMode: 1
; LDSByteSize: 0 bytes/workgroup (compile time only)
; SGPRBlocks: 0
; VGPRBlocks: 0
; NumSGPRsForWavesPerEU: 28
; NumVGPRsForWavesPerEU: 14
; NamedBarCnt: 0
; Occupancy: 16
; WaveLimiterHint : 1
; COMPUTE_PGM_RSRC2:SCRATCH_EN: 0
; COMPUTE_PGM_RSRC2:USER_SGPR: 2
; COMPUTE_PGM_RSRC2:TRAP_HANDLER: 0
; COMPUTE_PGM_RSRC2:TGID_X_EN: 1
; COMPUTE_PGM_RSRC2:TGID_Y_EN: 1
; COMPUTE_PGM_RSRC2:TGID_Z_EN: 1
; COMPUTE_PGM_RSRC2:TIDIG_COMP_CNT: 2
	.section	.text._ZL46kernel_cg_multi_grid_group_type_via_public_apiPiS_S_S_S_S_,"axG",@progbits,_ZL46kernel_cg_multi_grid_group_type_via_public_apiPiS_S_S_S_S_,comdat
	.globl	_ZL46kernel_cg_multi_grid_group_type_via_public_apiPiS_S_S_S_S_ ; -- Begin function _ZL46kernel_cg_multi_grid_group_type_via_public_apiPiS_S_S_S_S_
	.p2align	8
	.type	_ZL46kernel_cg_multi_grid_group_type_via_public_apiPiS_S_S_S_S_,@function
_ZL46kernel_cg_multi_grid_group_type_via_public_apiPiS_S_S_S_S_: ; @_ZL46kernel_cg_multi_grid_group_type_via_public_apiPiS_S_S_S_S_
; %bb.0:
	s_clause 0x1
	s_load_b64 s[2:3], s[0:1], 0x88
	s_load_b32 s22, s[0:1], 0x3c
	s_bfe_u32 s4, ttmp6, 0x4000c
	s_and_b32 s12, ttmp6, 15
	s_add_co_i32 s13, s4, 1
	s_load_b256 s[4:11], s[0:1], 0x0
	s_mul_i32 s13, ttmp9, s13
	s_getreg_b32 s21, hwreg(HW_REG_IB_STS2, 6, 4)
	v_and_b32_e32 v1, 0x3ff, v0
	s_wait_kmcnt 0x0
	s_clause 0x1
	s_load_b32 s20, s[2:3], 0x8
	s_load_b128 s[16:19], s[2:3], 0x10
	s_wait_kmcnt 0x0
	s_add_co_i32 s17, s12, s13
	s_cmp_eq_u32 s21, 0
	s_load_b128 s[12:15], s[0:1], 0x20
	s_cselect_b32 s17, ttmp9, s17
	s_and_b32 s19, s22, 0xffff
	s_wait_xcnt 0x0
	s_add_nc_u64 s[0:1], s[0:1], 48
	v_mad_u32 v2, s17, s19, v1
	s_delay_alu instid0(VALU_DEP_1)
	v_dual_ashrrev_i32 v3, 31, v2 :: v_dual_mov_b32 v5, s20
	v_mov_b32_e32 v4, s18
	s_clause 0x1
	global_store_b32 v2, v4, s[6:7] scale_offset
	global_store_b32 v2, v5, s[4:5] scale_offset
	s_wait_xcnt 0x1
	s_clause 0x1
	s_load_b32 s6, s[0:1], 0x40
	s_load_b32 s4, s[0:1], 0x0
	s_wait_kmcnt 0x0
	s_and_b32 s5, s6, 0xffff
	s_delay_alu instid0(SALU_CYCLE_1) | instskip(NEXT) | instid1(SALU_CYCLE_1)
	s_sext_i32_i16 s7, s5
	s_cmp_lt_i32 s7, 2
	s_cbranch_scc1 .LBB2_5
; %bb.1:
	s_sext_i32_i16 s6, s6
	s_delay_alu instid0(SALU_CYCLE_1)
	s_cmp_lt_i32 s6, 3
	s_cbranch_scc1 .LBB2_6
; %bb.2:
	v_mov_b64_e32 v[4:5], 0
	s_cmp_eq_u32 s5, 3
	s_cbranch_scc0 .LBB2_4
; %bb.3:
	v_mov_b32_e32 v5, 0
	s_bfe_u32 s18, ttmp6, 0x40014
	s_bfe_u32 s24, ttmp6, 0x40010
	s_lshr_b32 s7, ttmp7, 16
	s_and_b32 s23, ttmp7, 0xffff
	global_load_b32 v4, v5, s[0:1] offset:14
	s_load_b32 s6, s[0:1], 0x4
	s_add_co_i32 s18, s18, 1
	s_add_co_i32 s24, s24, 1
	s_bfe_u32 s22, ttmp6, 0x40008
	s_bfe_u32 s25, ttmp6, 0x40004
	s_mul_i32 s18, s7, s18
	s_mul_i32 s24, s23, s24
	v_bfe_u32 v6, v0, 10, 10
	v_bfe_u32 v7, v0, 20, 10
	s_add_co_i32 s22, s22, s18
	s_add_co_i32 s25, s25, s24
	s_cmp_eq_u32 s21, 0
	s_cselect_b32 s18, s23, s25
	s_cselect_b32 s7, s7, s22
	s_wait_loadcnt 0x0
	v_and_b32_e32 v8, 0xffff, v4
	v_lshrrev_b32_e32 v9, 16, v4
	s_wait_kmcnt 0x0
	s_delay_alu instid0(VALU_DEP_2) | instskip(SKIP_1) | instid1(VALU_DEP_3)
	v_mul_lo_u32 v10, s6, v8
	v_mad_u32 v4, s18, v8, v6
	v_mad_u32 v6, s7, v9, v7
	s_mul_i32 s6, s4, s19
	s_delay_alu instid0(VALU_DEP_1) | instskip(SKIP_1) | instid1(VALU_DEP_1)
	v_mad_nc_u64_u32 v[6:7], v6, v10, v[4:5]
	v_mov_b32_e32 v4, v2
	v_mad_nc_u64_u32 v[4:5], v6, s6, v[4:5]
.LBB2_4:
	s_cbranch_execz .LBB2_7
	s_branch .LBB2_8
.LBB2_5:
                                        ; implicit-def: $vgpr4_vgpr5
	s_branch .LBB2_9
.LBB2_6:
                                        ; implicit-def: $vgpr4_vgpr5
.LBB2_7:
	s_clause 0x1
	s_load_u16 s6, s[0:1], 0x12
	s_load_u16 s7, s[0:1], 0xe
	s_wait_xcnt 0x0
	s_bfe_u32 s0, ttmp6, 0x40010
	s_and_b32 s1, ttmp7, 0xffff
	s_add_co_i32 s0, s0, 1
	s_bfe_u32 s18, ttmp6, 0x40004
	s_mul_i32 s0, s1, s0
	s_mul_i32 s22, s4, s19
	s_add_co_i32 s18, s18, s0
	v_bfe_u32 v4, v0, 10, 10
	v_mov_b32_e32 v5, 0
	s_wait_kmcnt 0x0
	s_add_co_i32 s22, s22, s6
	s_cmp_eq_u32 s21, 0
	s_cselect_b32 s0, s1, s18
	s_delay_alu instid0(SALU_CYCLE_1) | instskip(SKIP_1) | instid1(VALU_DEP_1)
	v_mad_u32 v6, s0, s7, v4
	v_mov_b32_e32 v4, v2
	v_mad_nc_u64_u32 v[4:5], v6, s22, v[4:5]
.LBB2_8:
	s_cbranch_execnz .LBB2_11
.LBB2_9:
	v_mov_b64_e32 v[4:5], 0
	s_cmp_lg_u32 s5, 1
	s_cbranch_scc1 .LBB2_11
; %bb.10:
	v_mov_b64_e32 v[4:5], v[2:3]
.LBB2_11:
	s_delay_alu instid0(VALU_DEP_1)
	v_add_nc_u32_e32 v6, s16, v4
	v_lshl_add_u64 v[4:5], v[2:3], 2, s[8:9]
	s_cmp_eq_u64 s[2:3], 0
	global_store_b32 v[4:5], v6, off
	s_cbranch_scc1 .LBB2_13
; %bb.12:
	s_load_b32 s0, s[2:3], 0xc
	s_wait_kmcnt 0x0
	s_cmp_lg_u32 s0, 0
	s_cselect_b32 s0, -1, 0
	s_delay_alu instid0(SALU_CYCLE_1)
	v_cndmask_b32_e64 v4, 0, 1, s0
	s_branch .LBB2_14
.LBB2_13:
	s_wait_xcnt 0x0
	v_mov_b32_e32 v4, 0
.LBB2_14:
	v_lshlrev_b64_e32 v[6:7], 2, v[2:3]
	v_bfe_u32 v3, v0, 10, 10
	v_bfe_u32 v0, v0, 20, 10
	s_bfe_u32 s0, ttmp6, 0x40010
	s_and_b32 s5, ttmp7, 0xffff
	s_bfe_u32 s7, ttmp6, 0x40014
	s_add_co_i32 s0, s0, 1
	v_add_nc_u64_e32 v[8:9], s[10:11], v[6:7]
	s_bfe_u32 s1, ttmp6, 0x40004
	s_lshr_b32 s6, ttmp7, 16
	s_add_co_i32 s7, s7, 1
	s_mul_i32 s0, s5, s0
	v_add_nc_u64_e32 v[6:7], s[12:13], v[6:7]
	s_add_co_i32 s8, s1, s0
	global_store_b32 v[8:9], v4, off
	s_wait_xcnt 0x0
	v_or3_b32 v4, v1, v3, v0
	s_mul_i32 s0, s6, s7
	s_bfe_u32 s1, ttmp6, 0x40008
	v_mov_b32_e32 v2, 1
	s_add_co_i32 s1, s1, s0
	v_cmp_eq_u32_e64 s0, 0, v4
	s_cmp_eq_u32 s21, 0
	s_cselect_b32 s1, s6, s1
	s_cselect_b32 s6, s5, s8
	global_store_b32 v[6:7], v2, off
	s_wait_storecnt 0x0
	s_barrier_signal -1
	s_barrier_wait -1
	s_wait_xcnt 0x0
	s_and_saveexec_b32 s5, s0
	s_cbranch_execz .LBB2_24
; %bb.15:
	v_mov_b32_e32 v5, 0
	global_wb scope:SCOPE_DEV
	s_wait_storecnt 0x0
	s_mov_b32 s7, exec_lo
	s_mov_b32 s8, exec_lo
	global_load_b32 v2, v5, s[2:3] offset:40
	v_mbcnt_lo_u32_b32 v4, s7, 0
                                        ; implicit-def: $vgpr6
	s_wait_xcnt 0x0
	s_delay_alu instid0(VALU_DEP_1)
	v_cmpx_eq_u32_e32 0, v4
	s_cbranch_execz .LBB2_17
; %bb.16:
	s_bcnt1_i32_b32 s7, s7
	s_delay_alu instid0(SALU_CYCLE_1)
	v_mov_b32_e32 v6, s7
	global_atomic_add_u32 v6, v5, v6, s[2:3] offset:32 th:TH_ATOMIC_RETURN scope:SCOPE_DEV
.LBB2_17:
	s_wait_xcnt 0x0
	s_or_b32 exec_lo, exec_lo, s8
	s_wait_loadcnt 0x0
	v_readfirstlane_b32 s7, v6
	s_delay_alu instid0(VALU_DEP_1) | instskip(SKIP_1) | instid1(VALU_DEP_1)
	v_dual_add_nc_u32 v6, -1, v2 :: v_dual_add_nc_u32 v4, s7, v4
	s_mov_b32 s7, exec_lo
	v_and_b32_e32 v5, 0xffff, v4
	s_delay_alu instid0(VALU_DEP_1)
	v_cmpx_eq_u32_e64 v5, v6
	s_cbranch_execz .LBB2_20
; %bb.18:
	s_mov_b32 s8, exec_lo
	s_delay_alu instid0(SALU_CYCLE_1) | instskip(NEXT) | instid1(VALU_DEP_1)
	v_mbcnt_lo_u32_b32 v5, s8, 0
	v_cmp_eq_u32_e32 vcc_lo, 0, v5
	s_and_b32 s9, exec_lo, vcc_lo
	s_delay_alu instid0(SALU_CYCLE_1)
	s_mov_b32 exec_lo, s9
	s_cbranch_execz .LBB2_20
; %bb.19:
	v_dual_mov_b32 v5, 0 :: v_dual_sub_nc_u32 v2, 0x10000, v2
	s_bcnt1_i32_b32 s8, s8
	s_delay_alu instid0(VALU_DEP_1) | instid1(SALU_CYCLE_1)
	v_mul_lo_u32 v2, v2, s8
	global_atomic_add_u32 v5, v2, s[2:3] offset:32 scope:SCOPE_DEV
.LBB2_20:
	s_wait_xcnt 0x0
	s_or_b32 exec_lo, exec_lo, s7
	v_mov_b32_e32 v2, 0
	v_and_b32_e32 v4, 0xffff0000, v4
	global_load_b32 v5, v2, s[2:3] offset:32 scope:SCOPE_DEV
	s_wait_loadcnt 0x0
	v_and_b32_e32 v5, 0xffff0000, v5
	s_delay_alu instid0(VALU_DEP_1)
	v_cmp_eq_u32_e32 vcc_lo, v5, v4
	s_wait_xcnt 0x0
	s_and_b32 exec_lo, exec_lo, vcc_lo
	s_cbranch_execz .LBB2_23
; %bb.21:
	s_mov_b32 s7, 0
.LBB2_22:                               ; =>This Inner Loop Header: Depth=1
	s_sleep 1
	global_load_b32 v5, v2, s[2:3] offset:32 scope:SCOPE_DEV
	s_wait_loadcnt 0x0
	v_and_b32_e32 v5, 0xffff0000, v5
	s_delay_alu instid0(VALU_DEP_1)
	v_cmp_ne_u32_e32 vcc_lo, v5, v4
	s_or_b32 s7, vcc_lo, s7
	s_wait_xcnt 0x0
	s_and_not1_b32 exec_lo, exec_lo, s7
	s_cbranch_execnz .LBB2_22
.LBB2_23:
	s_wait_storecnt 0x0
	global_inv scope:SCOPE_DEV
	s_wait_loadcnt 0x0
.LBB2_24:
	s_or_b32 exec_lo, exec_lo, s5
	v_or_b32_e32 v2, s17, v1
	s_mov_b32 s7, exec_lo
	s_barrier_signal -1
	s_barrier_wait -1
	s_delay_alu instid0(VALU_DEP_1)
	v_cmpx_eq_u32_e32 0, v2
	s_cbranch_execz .LBB2_35
; %bb.25:
	v_mov_b32_e32 v4, 0
	s_mul_i32 s8, s4, s19
	s_delay_alu instid0(SALU_CYCLE_1)
	s_cmp_lt_u32 s8, 2
	global_load_b32 v4, v4, s[12:13]
	s_cbranch_scc1 .LBB2_34
; %bb.26:
	s_cmp_lt_u32 s8, 5
	s_cbranch_scc1 .LBB2_30
; %bb.27:
	s_add_co_i32 s9, s8, -1
	v_dual_mov_b32 v7, 0 :: v_dual_mov_b32 v6, 0
	v_dual_mov_b32 v5, 0 :: v_dual_mov_b32 v8, 0
	s_and_b32 s10, s9, -4
	s_add_nc_u64 s[4:5], s[12:13], 12
	s_mov_b32 s11, s10
.LBB2_28:                               ; =>This Inner Loop Header: Depth=1
	global_load_b128 v[10:13], v7, s[4:5] offset:-8
	s_add_co_i32 s11, s11, -4
	s_wait_xcnt 0x0
	s_add_nc_u64 s[4:5], s[4:5], 16
	s_cmp_lg_u32 s11, 0
	s_wait_loadcnt 0x0
	v_dual_add_nc_u32 v8, v8, v11 :: v_dual_add_nc_u32 v6, v6, v13
	v_dual_add_nc_u32 v4, v4, v10 :: v_dual_add_nc_u32 v5, v5, v12
	s_cbranch_scc1 .LBB2_28
; %bb.29:
	s_delay_alu instid0(VALU_DEP_2) | instskip(NEXT) | instid1(VALU_DEP_2)
	v_add_nc_u32_e32 v6, v6, v8
	v_add_nc_u32_e32 v4, v5, v4
	s_or_b32 s4, s10, 1
	s_cmp_lg_u32 s9, s10
	s_cselect_b32 s5, -1, 0
	s_delay_alu instid0(VALU_DEP_1)
	v_add_nc_u32_e32 v4, v4, v6
	s_and_b32 vcc_lo, exec_lo, s5
	s_cbranch_vccnz .LBB2_31
	s_branch .LBB2_33
.LBB2_30:
	s_mov_b32 s4, 1
	s_cbranch_execz .LBB2_33
.LBB2_31:
	s_mov_b32 s5, 0
	v_mov_b32_e32 v5, 0
	s_lshl_b64 s[10:11], s[4:5], 2
	s_sub_co_i32 s8, s8, s4
	s_add_nc_u64 s[4:5], s[12:13], s[10:11]
.LBB2_32:                               ; =>This Inner Loop Header: Depth=1
	global_load_b32 v6, v5, s[4:5]
	s_add_co_i32 s8, s8, -1
	s_wait_xcnt 0x0
	s_add_nc_u64 s[4:5], s[4:5], 4
	s_cmp_eq_u32 s8, 0
	s_wait_loadcnt 0x0
	v_add_nc_u32_e32 v4, v4, v6
	s_cbranch_scc0 .LBB2_32
.LBB2_33:
	v_mov_b32_e32 v5, 0
	s_wait_loadcnt 0x0
	global_store_b32 v5, v4, s[12:13]
.LBB2_34:
	s_add_co_i32 s4, s20, 1
	s_wait_xcnt 0x0
	v_mov_b32_e32 v5, s4
	s_wait_loadcnt 0x0
	global_store_b32 v5, v4, s[14:15] scale_offset
.LBB2_35:
	s_wait_xcnt 0x0
	s_or_b32 exec_lo, exec_lo, s7
	v_mov_b32_e32 v4, 0
	global_wb scope:SCOPE_SYS
	s_wait_storecnt 0x0
	global_inv scope:SCOPE_SYS
	s_barrier_signal -1
	s_barrier_wait -1
	global_load_b32 v4, v4, s[2:3] offset:40
	s_wait_loadcnt 0x0
	v_readfirstlane_b32 s4, v4
	s_and_saveexec_b32 s5, s0
	s_cbranch_execz .LBB2_44
; %bb.36:
	s_mov_b32 s8, exec_lo
	s_mov_b32 s7, exec_lo
	v_mbcnt_lo_u32_b32 v4, s8, 0
                                        ; implicit-def: $vgpr5
	s_delay_alu instid0(VALU_DEP_1)
	v_cmpx_eq_u32_e32 0, v4
	s_cbranch_execz .LBB2_38
; %bb.37:
	s_bcnt1_i32_b32 s8, s8
	s_delay_alu instid0(SALU_CYCLE_1)
	v_dual_mov_b32 v5, 0 :: v_dual_mov_b32 v6, s8
	global_atomic_add_u32 v5, v5, v6, s[2:3] offset:32 th:TH_ATOMIC_RETURN scope:SCOPE_DEV
.LBB2_38:
	s_wait_xcnt 0x0
	s_or_b32 exec_lo, exec_lo, s7
	s_wait_loadcnt 0x0
	v_readfirstlane_b32 s7, v5
	s_delay_alu instid0(VALU_DEP_1) | instskip(SKIP_1) | instid1(VALU_DEP_1)
	v_add_nc_u32_e32 v4, s7, v4
	s_add_co_i32 s7, s4, -1
	v_and_b32_e32 v5, 0xffff, v4
	s_delay_alu instid0(VALU_DEP_1)
	v_cmp_eq_u32_e32 vcc_lo, s7, v5
	s_and_saveexec_b32 s7, vcc_lo
	s_cbranch_execz .LBB2_41
; %bb.39:
	s_mov_b32 s8, exec_lo
	s_delay_alu instid0(SALU_CYCLE_1) | instskip(NEXT) | instid1(VALU_DEP_1)
	v_mbcnt_lo_u32_b32 v5, s8, 0
	v_cmp_eq_u32_e32 vcc_lo, 0, v5
	s_and_b32 s9, exec_lo, vcc_lo
	s_delay_alu instid0(SALU_CYCLE_1)
	s_mov_b32 exec_lo, s9
	s_cbranch_execz .LBB2_41
; %bb.40:
	s_sub_co_i32 s9, 0x10000, s4
	s_bcnt1_i32_b32 s8, s8
	s_delay_alu instid0(SALU_CYCLE_1) | instskip(NEXT) | instid1(SALU_CYCLE_1)
	s_mul_i32 s8, s9, s8
	v_dual_mov_b32 v5, 0 :: v_dual_mov_b32 v6, s8
	global_atomic_add_u32 v5, v6, s[2:3] offset:32 scope:SCOPE_DEV
.LBB2_41:
	s_wait_xcnt 0x0
	s_or_b32 exec_lo, exec_lo, s7
	v_mov_b32_e32 v5, 0
	v_and_b32_e32 v4, 0xffff0000, v4
	global_load_b32 v6, v5, s[2:3] offset:32 scope:SCOPE_DEV
	s_wait_loadcnt 0x0
	v_and_b32_e32 v6, 0xffff0000, v6
	s_delay_alu instid0(VALU_DEP_1)
	v_cmp_eq_u32_e32 vcc_lo, v6, v4
	s_wait_xcnt 0x0
	s_and_b32 exec_lo, exec_lo, vcc_lo
	s_cbranch_execz .LBB2_44
; %bb.42:
	s_mov_b32 s7, 0
.LBB2_43:                               ; =>This Inner Loop Header: Depth=1
	s_sleep 1
	global_load_b32 v6, v5, s[2:3] offset:32 scope:SCOPE_DEV
	s_wait_loadcnt 0x0
	v_and_b32_e32 v6, 0xffff0000, v6
	s_delay_alu instid0(VALU_DEP_1)
	v_cmp_ne_u32_e32 vcc_lo, v6, v4
	s_or_b32 s7, vcc_lo, s7
	s_wait_xcnt 0x0
	s_and_not1_b32 exec_lo, exec_lo, s7
	s_cbranch_execnz .LBB2_43
.LBB2_44:
	s_or_b32 exec_lo, exec_lo, s5
	s_or_b32 s1, s6, s1
	s_delay_alu instid0(SALU_CYCLE_1) | instskip(SKIP_1) | instid1(VALU_DEP_1)
	v_or3_b32 v1, s1, s17, v1
	s_mov_b32 s1, exec_lo
	v_or3_b32 v0, v1, v3, v0
	s_delay_alu instid0(VALU_DEP_1)
	v_cmpx_eq_u32_e32 0, v0
	s_cbranch_execz .LBB2_54
; %bb.45:
	v_mov_b32_e32 v4, 0
	s_mov_b32 s5, exec_lo
	s_mov_b32 s6, exec_lo
                                        ; implicit-def: $vgpr5
	s_clause 0x1
	global_load_b64 v[0:1], v4, s[2:3]
	global_load_b32 v3, v4, s[2:3] offset:12
	s_wait_xcnt 0x0
	v_mbcnt_lo_u32_b32 v4, s5, 0
	s_delay_alu instid0(VALU_DEP_1)
	v_cmpx_eq_u32_e32 0, v4
	s_cbranch_execz .LBB2_47
; %bb.46:
	s_bcnt1_i32_b32 s5, s5
	s_delay_alu instid0(SALU_CYCLE_1)
	v_mov_b32_e32 v5, s5
	s_wait_loadcnt 0x1
	global_atomic_add_u32 v5, v[0:1], v5, off th:TH_ATOMIC_RETURN scope:SCOPE_SYS
.LBB2_47:
	s_wait_xcnt 0x0
	s_or_b32 exec_lo, exec_lo, s6
	s_wait_loadcnt 0x0
	v_readfirstlane_b32 s5, v5
	s_delay_alu instid0(VALU_DEP_1) | instskip(SKIP_1) | instid1(VALU_DEP_1)
	v_dual_add_nc_u32 v6, -1, v3 :: v_dual_add_nc_u32 v4, s5, v4
	s_mov_b32 s5, exec_lo
	v_and_b32_e32 v5, 0xff, v4
	s_delay_alu instid0(VALU_DEP_1)
	v_cmpx_ne_u32_e64 v5, v6
	s_xor_b32 s5, exec_lo, s5
	s_cbranch_execz .LBB2_51
; %bb.48:
	s_mov_b32 s6, 0
.LBB2_49:                               ; =>This Inner Loop Header: Depth=1
	s_sleep 2
	global_load_b32 v3, v[0:1], off scope:SCOPE_SYS
	s_wait_loadcnt 0x0
	v_xor_b32_e32 v3, v3, v4
	s_delay_alu instid0(VALU_DEP_1)
	v_cmp_lt_u32_e32 vcc_lo, 0xff, v3
	s_or_b32 s6, vcc_lo, s6
	s_wait_xcnt 0x0
	s_and_not1_b32 exec_lo, exec_lo, s6
	s_cbranch_execnz .LBB2_49
; %bb.50:
	s_or_b32 exec_lo, exec_lo, s6
                                        ; implicit-def: $vgpr3
                                        ; implicit-def: $vgpr0_vgpr1
.LBB2_51:
	s_and_not1_saveexec_b32 s5, s5
	s_cbranch_execz .LBB2_54
; %bb.52:
	s_mov_b32 s5, exec_lo
	s_delay_alu instid0(SALU_CYCLE_1) | instskip(NEXT) | instid1(VALU_DEP_1)
	v_mbcnt_lo_u32_b32 v4, s5, 0
	v_cmp_eq_u32_e32 vcc_lo, 0, v4
	s_and_b32 s6, exec_lo, vcc_lo
	s_delay_alu instid0(SALU_CYCLE_1)
	s_mov_b32 exec_lo, s6
	s_cbranch_execz .LBB2_54
; %bb.53:
	v_sub_nc_u32_e32 v3, 0x100, v3
	s_bcnt1_i32_b32 s5, s5
	s_delay_alu instid0(VALU_DEP_1) | instid1(SALU_CYCLE_1)
	v_mul_lo_u32 v3, v3, s5
	global_atomic_add_u32 v[0:1], v3, off scope:SCOPE_SYS
.LBB2_54:
	s_wait_xcnt 0x0
	s_or_b32 exec_lo, exec_lo, s1
	s_and_saveexec_b32 s1, s0
	s_cbranch_execz .LBB2_63
; %bb.55:
	s_mov_b32 s5, exec_lo
	s_mov_b32 s0, exec_lo
	v_mbcnt_lo_u32_b32 v0, s5, 0
                                        ; implicit-def: $vgpr1
	s_delay_alu instid0(VALU_DEP_1)
	v_cmpx_eq_u32_e32 0, v0
	s_cbranch_execz .LBB2_57
; %bb.56:
	s_bcnt1_i32_b32 s5, s5
	s_delay_alu instid0(SALU_CYCLE_1)
	v_dual_mov_b32 v1, 0 :: v_dual_mov_b32 v3, s5
	global_atomic_add_u32 v1, v1, v3, s[2:3] offset:32 th:TH_ATOMIC_RETURN scope:SCOPE_DEV
.LBB2_57:
	s_wait_xcnt 0x0
	s_or_b32 exec_lo, exec_lo, s0
	s_wait_loadcnt 0x0
	v_readfirstlane_b32 s0, v1
	s_delay_alu instid0(VALU_DEP_1) | instskip(SKIP_1) | instid1(VALU_DEP_1)
	v_add_nc_u32_e32 v0, s0, v0
	s_add_co_i32 s0, s4, -1
	v_and_b32_e32 v1, 0xffff, v0
	s_delay_alu instid0(VALU_DEP_1)
	v_cmp_eq_u32_e32 vcc_lo, s0, v1
	s_and_saveexec_b32 s0, vcc_lo
	s_cbranch_execz .LBB2_60
; %bb.58:
	s_mov_b32 s5, exec_lo
	s_delay_alu instid0(SALU_CYCLE_1) | instskip(NEXT) | instid1(VALU_DEP_1)
	v_mbcnt_lo_u32_b32 v1, s5, 0
	v_cmp_eq_u32_e32 vcc_lo, 0, v1
	s_and_b32 s6, exec_lo, vcc_lo
	s_delay_alu instid0(SALU_CYCLE_1)
	s_mov_b32 exec_lo, s6
	s_cbranch_execz .LBB2_60
; %bb.59:
	s_sub_co_i32 s4, 0x10000, s4
	s_bcnt1_i32_b32 s5, s5
	s_delay_alu instid0(SALU_CYCLE_1) | instskip(NEXT) | instid1(SALU_CYCLE_1)
	s_mul_i32 s4, s4, s5
	v_dual_mov_b32 v1, 0 :: v_dual_mov_b32 v3, s4
	global_atomic_add_u32 v1, v3, s[2:3] offset:32 scope:SCOPE_DEV
.LBB2_60:
	s_wait_xcnt 0x0
	s_or_b32 exec_lo, exec_lo, s0
	v_mov_b32_e32 v1, 0
	v_and_b32_e32 v0, 0xffff0000, v0
	global_load_b32 v3, v1, s[2:3] offset:32 scope:SCOPE_DEV
	s_wait_loadcnt 0x0
	v_and_b32_e32 v3, 0xffff0000, v3
	s_delay_alu instid0(VALU_DEP_1)
	v_cmp_eq_u32_e32 vcc_lo, v3, v0
	s_wait_xcnt 0x0
	s_and_b32 exec_lo, exec_lo, vcc_lo
	s_cbranch_execz .LBB2_63
; %bb.61:
	s_mov_b32 s0, 0
.LBB2_62:                               ; =>This Inner Loop Header: Depth=1
	s_sleep 1
	global_load_b32 v3, v1, s[2:3] offset:32 scope:SCOPE_DEV
	s_wait_loadcnt 0x0
	v_and_b32_e32 v3, 0xffff0000, v3
	s_delay_alu instid0(VALU_DEP_1)
	v_cmp_ne_u32_e32 vcc_lo, v3, v0
	s_or_b32 s0, vcc_lo, s0
	s_wait_xcnt 0x0
	s_and_not1_b32 exec_lo, exec_lo, s0
	s_cbranch_execnz .LBB2_62
.LBB2_63:
	s_or_b32 exec_lo, exec_lo, s1
	v_or_b32_e32 v0, s20, v2
	s_barrier_signal -1
	s_barrier_wait -1
	s_mov_b32 s0, exec_lo
	s_delay_alu instid0(VALU_DEP_1)
	v_cmpx_eq_u32_e32 0, v0
	s_cbranch_execz .LBB2_73
; %bb.64:
	v_mov_b32_e32 v0, 0
	global_store_b32 v0, v0, s[14:15]
	s_load_b32 s0, s[2:3], 0xc
	s_wait_kmcnt 0x0
	s_cmp_eq_u32 s0, 0
	s_cbranch_scc1 .LBB2_73
; %bb.65:
	s_add_co_i32 s0, s0, 1
	s_delay_alu instid0(SALU_CYCLE_1)
	s_max_u32 s2, s0, 2
	s_cmp_lt_u32 s0, 5
	s_mov_b32 s0, 1
	s_cbranch_scc1 .LBB2_69
; %bb.66:
	s_add_co_i32 s3, s2, -1
	v_dual_mov_b32 v3, 0 :: v_dual_mov_b32 v0, 0
	v_dual_mov_b32 v2, 0 :: v_dual_mov_b32 v1, 0
	v_mov_b32_e32 v4, 0
	s_and_b32 s4, s3, -4
	s_add_nc_u64 s[0:1], s[14:15], 12
	s_mov_b32 s5, s4
.LBB2_67:                               ; =>This Inner Loop Header: Depth=1
	global_load_b128 v[6:9], v3, s[0:1] offset:-8
	s_add_co_i32 s5, s5, -4
	s_wait_xcnt 0x0
	s_add_nc_u64 s[0:1], s[0:1], 16
	s_cmp_lg_u32 s5, 0
	s_wait_loadcnt 0x0
	v_dual_add_nc_u32 v4, v4, v7 :: v_dual_add_nc_u32 v2, v2, v9
	v_dual_add_nc_u32 v0, v0, v6 :: v_dual_add_nc_u32 v1, v1, v8
	s_cbranch_scc1 .LBB2_67
; %bb.68:
	s_delay_alu instid0(VALU_DEP_2) | instskip(NEXT) | instid1(VALU_DEP_2)
	v_add_nc_u32_e32 v2, v2, v4
	v_add_nc_u32_e32 v0, v1, v0
	s_or_b32 s0, s4, 1
	s_cmp_lg_u32 s3, s4
	s_cselect_b32 s1, -1, 0
	s_delay_alu instid0(VALU_DEP_1)
	v_add_nc_u32_e32 v0, v0, v2
	s_and_b32 vcc_lo, exec_lo, s1
	s_cbranch_vccnz .LBB2_70
	s_branch .LBB2_72
.LBB2_69:
	s_cbranch_execz .LBB2_72
.LBB2_70:
	s_mov_b32 s1, 0
	v_mov_b32_e32 v1, 0
	s_lshl_b64 s[4:5], s[0:1], 2
	s_sub_co_i32 s2, s2, s0
	s_add_nc_u64 s[0:1], s[14:15], s[4:5]
.LBB2_71:                               ; =>This Inner Loop Header: Depth=1
	global_load_b32 v2, v1, s[0:1]
	s_add_co_i32 s2, s2, -1
	s_wait_xcnt 0x0
	s_add_nc_u64 s[0:1], s[0:1], 4
	s_cmp_lg_u32 s2, 0
	s_wait_loadcnt 0x0
	v_add_nc_u32_e32 v0, v0, v2
	s_cbranch_scc1 .LBB2_71
.LBB2_72:
	v_mov_b32_e32 v1, 0
	global_store_b32 v1, v0, s[14:15]
.LBB2_73:
	s_endpgm
	.section	.rodata,"a",@progbits
	.p2align	6, 0x0
	.amdhsa_kernel _ZL46kernel_cg_multi_grid_group_type_via_public_apiPiS_S_S_S_S_
		.amdhsa_group_segment_fixed_size 0
		.amdhsa_private_segment_fixed_size 0
		.amdhsa_kernarg_size 304
		.amdhsa_user_sgpr_count 2
		.amdhsa_user_sgpr_dispatch_ptr 0
		.amdhsa_user_sgpr_queue_ptr 0
		.amdhsa_user_sgpr_kernarg_segment_ptr 1
		.amdhsa_user_sgpr_dispatch_id 0
		.amdhsa_user_sgpr_kernarg_preload_length 0
		.amdhsa_user_sgpr_kernarg_preload_offset 0
		.amdhsa_user_sgpr_private_segment_size 0
		.amdhsa_wavefront_size32 1
		.amdhsa_uses_dynamic_stack 0
		.amdhsa_enable_private_segment 0
		.amdhsa_system_sgpr_workgroup_id_x 1
		.amdhsa_system_sgpr_workgroup_id_y 1
		.amdhsa_system_sgpr_workgroup_id_z 1
		.amdhsa_system_sgpr_workgroup_info 0
		.amdhsa_system_vgpr_workitem_id 2
		.amdhsa_next_free_vgpr 14
		.amdhsa_next_free_sgpr 26
		.amdhsa_named_barrier_count 0
		.amdhsa_reserve_vcc 1
		.amdhsa_float_round_mode_32 0
		.amdhsa_float_round_mode_16_64 0
		.amdhsa_float_denorm_mode_32 3
		.amdhsa_float_denorm_mode_16_64 3
		.amdhsa_fp16_overflow 0
		.amdhsa_memory_ordered 1
		.amdhsa_forward_progress 1
		.amdhsa_inst_pref_size 23
		.amdhsa_round_robin_scheduling 0
		.amdhsa_exception_fp_ieee_invalid_op 0
		.amdhsa_exception_fp_denorm_src 0
		.amdhsa_exception_fp_ieee_div_zero 0
		.amdhsa_exception_fp_ieee_overflow 0
		.amdhsa_exception_fp_ieee_underflow 0
		.amdhsa_exception_fp_ieee_inexact 0
		.amdhsa_exception_int_div_zero 0
	.end_amdhsa_kernel
	.section	.text._ZL46kernel_cg_multi_grid_group_type_via_public_apiPiS_S_S_S_S_,"axG",@progbits,_ZL46kernel_cg_multi_grid_group_type_via_public_apiPiS_S_S_S_S_,comdat
.Lfunc_end2:
	.size	_ZL46kernel_cg_multi_grid_group_type_via_public_apiPiS_S_S_S_S_, .Lfunc_end2-_ZL46kernel_cg_multi_grid_group_type_via_public_apiPiS_S_S_S_S_
                                        ; -- End function
	.set _ZL46kernel_cg_multi_grid_group_type_via_public_apiPiS_S_S_S_S_.num_vgpr, 14
	.set _ZL46kernel_cg_multi_grid_group_type_via_public_apiPiS_S_S_S_S_.num_agpr, 0
	.set _ZL46kernel_cg_multi_grid_group_type_via_public_apiPiS_S_S_S_S_.numbered_sgpr, 26
	.set _ZL46kernel_cg_multi_grid_group_type_via_public_apiPiS_S_S_S_S_.num_named_barrier, 0
	.set _ZL46kernel_cg_multi_grid_group_type_via_public_apiPiS_S_S_S_S_.private_seg_size, 0
	.set _ZL46kernel_cg_multi_grid_group_type_via_public_apiPiS_S_S_S_S_.uses_vcc, 1
	.set _ZL46kernel_cg_multi_grid_group_type_via_public_apiPiS_S_S_S_S_.uses_flat_scratch, 0
	.set _ZL46kernel_cg_multi_grid_group_type_via_public_apiPiS_S_S_S_S_.has_dyn_sized_stack, 0
	.set _ZL46kernel_cg_multi_grid_group_type_via_public_apiPiS_S_S_S_S_.has_recursion, 0
	.set _ZL46kernel_cg_multi_grid_group_type_via_public_apiPiS_S_S_S_S_.has_indirect_call, 0
	.section	.AMDGPU.csdata,"",@progbits
; Kernel info:
; codeLenInByte = 2916
; TotalNumSgprs: 28
; NumVgprs: 14
; ScratchSize: 0
; MemoryBound: 0
; FloatMode: 240
; IeeeMode: 1
; LDSByteSize: 0 bytes/workgroup (compile time only)
; SGPRBlocks: 0
; VGPRBlocks: 0
; NumSGPRsForWavesPerEU: 28
; NumVGPRsForWavesPerEU: 14
; NamedBarCnt: 0
; Occupancy: 16
; WaveLimiterHint : 1
; COMPUTE_PGM_RSRC2:SCRATCH_EN: 0
; COMPUTE_PGM_RSRC2:USER_SGPR: 2
; COMPUTE_PGM_RSRC2:TRAP_HANDLER: 0
; COMPUTE_PGM_RSRC2:TGID_X_EN: 1
; COMPUTE_PGM_RSRC2:TGID_Y_EN: 1
; COMPUTE_PGM_RSRC2:TGID_Z_EN: 1
; COMPUTE_PGM_RSRC2:TIDIG_COMP_CNT: 2
	.text
	.protected	_Z11test_kernelPjS_jS_S_S_S_ ; -- Begin function _Z11test_kernelPjS_jS_S_S_S_
	.globl	_Z11test_kernelPjS_jS_S_S_S_
	.p2align	8
	.type	_Z11test_kernelPjS_jS_S_S_S_,@function
_Z11test_kernelPjS_jS_S_S_S_:           ; @_Z11test_kernelPjS_jS_S_S_S_
; %bb.0:
	s_load_b32 s26, s[0:1], 0x10
	s_mov_b32 s21, 0
	s_wait_kmcnt 0x0
	s_cmp_eq_u32 s26, 0
	s_cbranch_scc1 .LBB3_80
; %bb.1:
	v_mov_b32_e32 v2, 0
	s_bfe_u32 s24, ttmp6, 0x40014
	s_bfe_u32 s25, ttmp6, 0x4000c
	s_lshr_b32 s20, ttmp7, 16
	s_add_co_i32 s24, s24, 1
	global_load_b32 v1, v2, s[0:1] offset:70
	s_clause 0x3
	s_load_b96 s[16:18], s[0:1], 0x38
	s_load_b64 s[22:23], s[0:1], 0x90
	s_load_b128 s[12:15], s[0:1], 0x0
	s_load_b256 s[4:11], s[0:1], 0x18
	s_add_co_i32 s25, s25, 1
	s_add_nc_u64 s[2:3], s[0:1], 56
	s_wait_xcnt 0x0
	s_bfe_u32 s1, ttmp6, 0x40010
	s_mul_i32 s30, s20, s24
	s_mul_i32 s31, ttmp9, s25
	s_and_b32 s0, ttmp7, 0xffff
	s_add_co_i32 s1, s1, 1
	s_bfe_u32 s19, ttmp6, 0x40004
	s_bfe_u32 s27, ttmp6, 0x40008
	s_and_b32 s28, ttmp6, 15
	s_mul_i32 s1, s0, s1
	s_getreg_b32 s29, hwreg(HW_REG_IB_STS2, 6, 4)
	s_add_co_i32 s19, s19, s1
	s_add_co_i32 s27, s27, s30
	;; [unrolled: 1-line block ×3, first 2 shown]
	s_cmp_eq_u32 s29, 0
	v_bfe_u32 v4, v0, 20, 10
	s_wait_kmcnt 0x0
	s_load_b64 s[24:25], s[22:23], 0x8
	s_cselect_b32 s1, s20, s27
	s_cselect_b32 s0, s0, s19
	s_mul_i32 s19, s17, s1
	s_cselect_b32 s27, ttmp9, s28
	s_add_co_i32 s19, s19, s0
	s_or_b32 s0, s0, s27
	s_mul_i32 s19, s19, s16
	s_or_b32 s1, s0, s1
	s_add_co_i32 s19, s19, s27
	v_bfe_u32 v5, v0, 10, 10
	v_and_b32_e32 v6, 0x3ff, v0
	s_mul_i32 s17, s17, s18
	s_delay_alu instid0(SALU_CYCLE_1)
	s_mul_i32 s28, s17, s16
	s_wait_kmcnt 0x0
	s_mov_b32 s18, s24
	s_wait_loadcnt 0x0
	v_readfirstlane_b32 s20, v1
	v_lshrrev_b32_e32 v1, 10, v0
	s_lshr_b32 s29, s20, 16
	s_and_b32 s31, s20, 0xffff
	s_cmp_lt_u32 s27, s16
	s_delay_alu instid0(VALU_DEP_1)
	v_bitop3_b32 v0, v0, v1, 0x3ff bitop3:0xa8
	s_cselect_b32 s20, 12, 18
	s_abs_i32 s33, s25
	s_add_nc_u64 s[2:3], s[2:3], s[20:21]
	s_cvt_f32_u32 s0, s33
	s_load_u16 s2, s[2:3], 0x0
	s_wait_xcnt 0x0
	s_mul_i32 s3, s17, s29
	s_add_co_i32 s30, s24, 1
	v_rcp_iflag_f32_e32 v1, s0
	s_abs_i32 s35, s30
	s_mul_i32 s3, s3, s31
	s_ashr_i32 s34, s30, 31
	s_mul_i32 s3, s3, s16
	v_dual_mov_b32 v3, -1 :: v_dual_bitop2_b32 v7, v0, v4 bitop3:0x54
	s_delay_alu instid0(TRANS32_DEP_1)
	v_readfirstlane_b32 s20, v1
	v_mad_u32 v1, s19, s29, v4
	s_ashr_i32 s19, s24, 31
	s_add_co_i32 s29, s28, -1
	s_lshl_b64 s[18:19], s[18:19], 2
	s_mul_f32 s17, s20, 0x4f7ffffe
	s_sub_co_i32 s20, 0, s33
	v_or3_b32 v0, s1, v4, v0
	v_cmp_eq_u32_e64 s0, 0, v6
	s_cvt_u32_f32 s17, s17
	s_wait_kmcnt 0x0
	s_mul_i32 s3, s3, s2
	v_cmp_eq_u32_e64 s1, 0, v7
	v_mad_u32 v1, v1, s31, v5
	s_mul_i32 s20, s20, s17
	s_add_co_i32 s3, s3, -1
	s_mul_hi_u32 s20, s17, s20
	s_mov_b32 s25, 0
	s_add_co_i32 s17, s17, s20
	s_mul_i32 s24, s24, s26
	s_mul_hi_u32 s17, s35, s17
	s_add_nc_u64 s[6:7], s[6:7], s[18:19]
	s_mul_i32 s17, s17, s33
	s_mov_b32 s20, s21
	s_sub_co_i32 s16, s35, s17
	v_mad_u32 v1, v1, s2, v6
	s_sub_co_i32 s17, s16, s33
	s_cmp_ge_u32 s16, s33
	s_cselect_b32 s16, s17, s16
	s_delay_alu instid0(SALU_CYCLE_1)
	s_sub_co_i32 s2, s16, s33
	s_cmp_ge_u32 s16, s33
	s_cselect_b32 s16, s2, s16
	v_cmp_eq_u32_e64 s2, 0, v0
	s_xor_b32 s16, s16, s34
	v_cmp_eq_u32_e64 s3, s3, v1
	s_sub_co_i32 s34, s16, s34
	s_add_nc_u64 s[16:17], s[10:11], s[18:19]
	s_ashr_i32 s35, s34, 31
	s_delay_alu instid0(SALU_CYCLE_1) | instskip(NEXT) | instid1(SALU_CYCLE_1)
	s_lshl_b64 s[34:35], s[34:35], 2
	s_add_nc_u64 s[10:11], s[10:11], s[34:35]
	s_branch .LBB3_3
.LBB3_2:                                ;   in Loop: Header=BB3_3 Depth=1
	s_or_b32 exec_lo, exec_lo, s19
	s_add_co_i32 s20, s20, 1
	s_add_co_i32 s25, s25, s28
	s_cmp_eq_u32 s20, s26
	s_barrier_signal -1
	s_barrier_wait -1
	s_cbranch_scc1 .LBB3_80
.LBB3_3:                                ; =>This Loop Header: Depth=1
                                        ;     Child Loop BB3_6 Depth 2
                                        ;     Child Loop BB3_18 Depth 2
	;; [unrolled: 1-line block ×8, first 2 shown]
	s_and_saveexec_b32 s31, s3
	s_cbranch_execz .LBB3_8
; %bb.4:                                ;   in Loop: Header=BB3_3 Depth=1
	v_mov_b32_e32 v0, s20
	global_load_b32 v0, v0, s[4:5] scale_offset scope:SCOPE_DEV
	s_wait_loadcnt 0x0
	v_cmp_le_u32_e32 vcc_lo, s29, v0
	s_cbranch_vccnz .LBB3_7
; %bb.5:                                ;   in Loop: Header=BB3_3 Depth=1
	s_lshl_b64 s[18:19], s[20:21], 2
	s_delay_alu instid0(SALU_CYCLE_1)
	s_add_nc_u64 s[18:19], s[4:5], s[18:19]
.LBB3_6:                                ;   Parent Loop BB3_3 Depth=1
                                        ; =>  This Inner Loop Header: Depth=2
	s_sleep 0x7f
	global_load_b32 v0, v2, s[18:19] scope:SCOPE_DEV
	s_wait_loadcnt 0x0
	v_cmp_gt_u32_e32 vcc_lo, s29, v0
	s_cbranch_vccnz .LBB3_6
.LBB3_7:                                ;   in Loop: Header=BB3_3 Depth=1
	s_sleep 0x7f
.LBB3_8:                                ;   in Loop: Header=BB3_3 Depth=1
	s_wait_xcnt 0x0
	s_or_b32 exec_lo, exec_lo, s31
	s_and_saveexec_b32 s18, s0
	s_cbranch_execz .LBB3_10
; %bb.9:                                ;   in Loop: Header=BB3_3 Depth=1
	s_add_co_i32 s19, s25, s27
	s_delay_alu instid0(SALU_CYCLE_1)
	v_dual_mov_b32 v0, s20 :: v_dual_mov_b32 v1, s19
	global_atomic_inc_u32 v0, v3, s[4:5] scale_offset scope:SCOPE_DEV
	s_wait_xcnt 0x0
	global_atomic_inc_u32 v0, v2, v3, s[12:13] th:TH_ATOMIC_RETURN scope:SCOPE_DEV
	s_wait_loadcnt 0x0
	global_store_b32 v1, v0, s[14:15] scale_offset
.LBB3_10:                               ;   in Loop: Header=BB3_3 Depth=1
	s_wait_xcnt 0x0
	s_or_b32 exec_lo, exec_lo, s18
	s_wait_storecnt 0x0
	s_barrier_signal -1
	s_barrier_wait -1
	s_and_saveexec_b32 s18, s1
	s_cbranch_execz .LBB3_20
; %bb.11:                               ;   in Loop: Header=BB3_3 Depth=1
	global_wb scope:SCOPE_DEV
	s_wait_storecnt 0x0
	global_load_b32 v0, v2, s[22:23] offset:40
	s_mov_b32 s19, exec_lo
	s_mov_b32 s31, exec_lo
	v_mbcnt_lo_u32_b32 v1, s19, 0
                                        ; implicit-def: $vgpr4
	s_wait_xcnt 0x0
	s_delay_alu instid0(VALU_DEP_1)
	v_cmpx_eq_u32_e32 0, v1
	s_cbranch_execz .LBB3_13
; %bb.12:                               ;   in Loop: Header=BB3_3 Depth=1
	s_bcnt1_i32_b32 s19, s19
	s_delay_alu instid0(SALU_CYCLE_1)
	v_mov_b32_e32 v4, s19
	global_atomic_add_u32 v4, v2, v4, s[22:23] offset:32 th:TH_ATOMIC_RETURN scope:SCOPE_DEV
.LBB3_13:                               ;   in Loop: Header=BB3_3 Depth=1
	s_wait_xcnt 0x0
	s_or_b32 exec_lo, exec_lo, s31
	s_wait_loadcnt 0x0
	v_readfirstlane_b32 s19, v4
	s_delay_alu instid0(VALU_DEP_1) | instskip(SKIP_1) | instid1(VALU_DEP_1)
	v_dual_add_nc_u32 v5, -1, v0 :: v_dual_add_nc_u32 v1, s19, v1
	s_mov_b32 s19, exec_lo
	v_and_b32_e32 v4, 0xffff, v1
	s_delay_alu instid0(VALU_DEP_1)
	v_cmpx_eq_u32_e64 v4, v5
	s_cbranch_execz .LBB3_16
; %bb.14:                               ;   in Loop: Header=BB3_3 Depth=1
	s_mov_b32 s31, exec_lo
	s_delay_alu instid0(SALU_CYCLE_1) | instskip(NEXT) | instid1(VALU_DEP_1)
	v_mbcnt_lo_u32_b32 v4, s31, 0
	v_cmp_eq_u32_e32 vcc_lo, 0, v4
	s_and_b32 s33, exec_lo, vcc_lo
	s_delay_alu instid0(SALU_CYCLE_1)
	s_mov_b32 exec_lo, s33
	s_cbranch_execz .LBB3_16
; %bb.15:                               ;   in Loop: Header=BB3_3 Depth=1
	v_sub_nc_u32_e32 v0, 0x10000, v0
	s_bcnt1_i32_b32 s31, s31
	s_delay_alu instid0(VALU_DEP_1) | instid1(SALU_CYCLE_1)
	v_mul_lo_u32 v0, v0, s31
	global_atomic_add_u32 v2, v0, s[22:23] offset:32 scope:SCOPE_DEV
.LBB3_16:                               ;   in Loop: Header=BB3_3 Depth=1
	s_wait_xcnt 0x0
	s_or_b32 exec_lo, exec_lo, s19
	global_load_b32 v4, v2, s[22:23] offset:32 scope:SCOPE_DEV
	v_and_b32_e32 v0, 0xffff0000, v1
	s_wait_loadcnt 0x0
	v_and_b32_e32 v1, 0xffff0000, v4
	s_delay_alu instid0(VALU_DEP_1)
	v_cmp_eq_u32_e32 vcc_lo, v1, v0
	s_wait_xcnt 0x0
	s_and_b32 exec_lo, exec_lo, vcc_lo
	s_cbranch_execz .LBB3_19
; %bb.17:                               ;   in Loop: Header=BB3_3 Depth=1
	s_mov_b32 s19, 0
.LBB3_18:                               ;   Parent Loop BB3_3 Depth=1
                                        ; =>  This Inner Loop Header: Depth=2
	s_sleep 1
	global_load_b32 v1, v2, s[22:23] offset:32 scope:SCOPE_DEV
	s_wait_loadcnt 0x0
	v_and_b32_e32 v1, 0xffff0000, v1
	s_delay_alu instid0(VALU_DEP_1)
	v_cmp_ne_u32_e32 vcc_lo, v1, v0
	s_or_b32 s19, vcc_lo, s19
	s_wait_xcnt 0x0
	s_and_not1_b32 exec_lo, exec_lo, s19
	s_cbranch_execnz .LBB3_18
.LBB3_19:                               ;   in Loop: Header=BB3_3 Depth=1
	s_wait_storecnt 0x0
	global_inv scope:SCOPE_DEV
	s_wait_loadcnt 0x0
.LBB3_20:                               ;   in Loop: Header=BB3_3 Depth=1
	s_or_b32 exec_lo, exec_lo, s18
	s_barrier_signal -1
	s_barrier_wait -1
	s_and_saveexec_b32 s18, s3
	s_cbranch_execz .LBB3_24
; %bb.21:                               ;   in Loop: Header=BB3_3 Depth=1
	s_mov_b32 s31, exec_lo
	s_mov_b32 s19, exec_lo
	v_mbcnt_lo_u32_b32 v0, s31, 0
                                        ; implicit-def: $vgpr1
	s_delay_alu instid0(VALU_DEP_1)
	v_cmpx_eq_u32_e32 0, v0
	s_cbranch_execz .LBB3_23
; %bb.22:                               ;   in Loop: Header=BB3_3 Depth=1
	s_bcnt1_i32_b32 s31, s31
	s_delay_alu instid0(SALU_CYCLE_1) | instskip(NEXT) | instid1(SALU_CYCLE_1)
	s_mul_i32 s31, s30, s31
	v_mov_b32_e32 v1, s31
	global_atomic_add_u32 v1, v2, v1, s[6:7] th:TH_ATOMIC_RETURN scope:SCOPE_DEV
.LBB3_23:                               ;   in Loop: Header=BB3_3 Depth=1
	s_wait_xcnt 0x0
	s_or_b32 exec_lo, exec_lo, s19
	s_wait_loadcnt 0x0
	v_readfirstlane_b32 s19, v1
	s_delay_alu instid0(VALU_DEP_1)
	v_mad_u32 v0, s30, v0, s19
	global_store_b32 v2, v0, s[16:17]
.LBB3_24:                               ;   in Loop: Header=BB3_3 Depth=1
	s_wait_xcnt 0x0
	s_or_b32 exec_lo, exec_lo, s18
	global_wb scope:SCOPE_SYS
	s_wait_storecnt 0x0
	global_inv scope:SCOPE_SYS
	s_barrier_signal -1
	s_barrier_wait -1
	global_load_b32 v0, v2, s[22:23] offset:40
	s_wait_loadcnt 0x0
	v_readfirstlane_b32 s18, v0
	s_and_saveexec_b32 s19, s1
	s_cbranch_execz .LBB3_33
; %bb.25:                               ;   in Loop: Header=BB3_3 Depth=1
	s_mov_b32 s33, exec_lo
	s_mov_b32 s31, exec_lo
	v_mbcnt_lo_u32_b32 v0, s33, 0
                                        ; implicit-def: $vgpr1
	s_delay_alu instid0(VALU_DEP_1)
	v_cmpx_eq_u32_e32 0, v0
	s_cbranch_execz .LBB3_27
; %bb.26:                               ;   in Loop: Header=BB3_3 Depth=1
	s_bcnt1_i32_b32 s33, s33
	s_delay_alu instid0(SALU_CYCLE_1)
	v_mov_b32_e32 v1, s33
	global_atomic_add_u32 v1, v2, v1, s[22:23] offset:32 th:TH_ATOMIC_RETURN scope:SCOPE_DEV
.LBB3_27:                               ;   in Loop: Header=BB3_3 Depth=1
	s_wait_xcnt 0x0
	s_or_b32 exec_lo, exec_lo, s31
	s_wait_loadcnt 0x0
	v_readfirstlane_b32 s31, v1
	s_delay_alu instid0(VALU_DEP_1) | instskip(SKIP_1) | instid1(VALU_DEP_1)
	v_add_nc_u32_e32 v0, s31, v0
	s_add_co_i32 s31, s18, -1
	v_and_b32_e32 v1, 0xffff, v0
	s_delay_alu instid0(VALU_DEP_1)
	v_cmp_eq_u32_e32 vcc_lo, s31, v1
	s_and_saveexec_b32 s31, vcc_lo
	s_cbranch_execz .LBB3_30
; %bb.28:                               ;   in Loop: Header=BB3_3 Depth=1
	s_mov_b32 s33, exec_lo
	s_delay_alu instid0(SALU_CYCLE_1) | instskip(NEXT) | instid1(VALU_DEP_1)
	v_mbcnt_lo_u32_b32 v1, s33, 0
	v_cmp_eq_u32_e32 vcc_lo, 0, v1
	s_and_b32 s34, exec_lo, vcc_lo
	s_delay_alu instid0(SALU_CYCLE_1)
	s_mov_b32 exec_lo, s34
	s_cbranch_execz .LBB3_30
; %bb.29:                               ;   in Loop: Header=BB3_3 Depth=1
	s_sub_co_i32 s34, 0x10000, s18
	s_bcnt1_i32_b32 s33, s33
	s_delay_alu instid0(SALU_CYCLE_1) | instskip(NEXT) | instid1(SALU_CYCLE_1)
	s_mul_i32 s33, s34, s33
	v_mov_b32_e32 v1, s33
	global_atomic_add_u32 v2, v1, s[22:23] offset:32 scope:SCOPE_DEV
.LBB3_30:                               ;   in Loop: Header=BB3_3 Depth=1
	s_wait_xcnt 0x0
	s_or_b32 exec_lo, exec_lo, s31
	global_load_b32 v1, v2, s[22:23] offset:32 scope:SCOPE_DEV
	v_and_b32_e32 v0, 0xffff0000, v0
	s_wait_loadcnt 0x0
	v_and_b32_e32 v1, 0xffff0000, v1
	s_delay_alu instid0(VALU_DEP_1)
	v_cmp_eq_u32_e32 vcc_lo, v1, v0
	s_wait_xcnt 0x0
	s_and_b32 exec_lo, exec_lo, vcc_lo
	s_cbranch_execz .LBB3_33
; %bb.31:                               ;   in Loop: Header=BB3_3 Depth=1
	s_mov_b32 s31, 0
.LBB3_32:                               ;   Parent Loop BB3_3 Depth=1
                                        ; =>  This Inner Loop Header: Depth=2
	s_sleep 1
	global_load_b32 v1, v2, s[22:23] offset:32 scope:SCOPE_DEV
	s_wait_loadcnt 0x0
	v_and_b32_e32 v1, 0xffff0000, v1
	s_delay_alu instid0(VALU_DEP_1)
	v_cmp_ne_u32_e32 vcc_lo, v1, v0
	s_or_b32 s31, vcc_lo, s31
	s_wait_xcnt 0x0
	s_and_not1_b32 exec_lo, exec_lo, s31
	s_cbranch_execnz .LBB3_32
.LBB3_33:                               ;   in Loop: Header=BB3_3 Depth=1
	s_or_b32 exec_lo, exec_lo, s19
	s_and_saveexec_b32 s19, s2
	s_cbranch_execz .LBB3_43
; %bb.34:                               ;   in Loop: Header=BB3_3 Depth=1
	s_clause 0x1
	global_load_b64 v[0:1], v2, s[22:23]
	global_load_b32 v4, v2, s[22:23] offset:12
	s_mov_b32 s31, exec_lo
	s_mov_b32 s33, exec_lo
	v_mbcnt_lo_u32_b32 v5, s31, 0
                                        ; implicit-def: $vgpr6
	s_wait_xcnt 0x0
	s_delay_alu instid0(VALU_DEP_1)
	v_cmpx_eq_u32_e32 0, v5
	s_cbranch_execz .LBB3_36
; %bb.35:                               ;   in Loop: Header=BB3_3 Depth=1
	s_bcnt1_i32_b32 s31, s31
	s_delay_alu instid0(SALU_CYCLE_1)
	v_mov_b32_e32 v6, s31
	s_wait_loadcnt 0x1
	global_atomic_add_u32 v6, v[0:1], v6, off th:TH_ATOMIC_RETURN scope:SCOPE_SYS
.LBB3_36:                               ;   in Loop: Header=BB3_3 Depth=1
	s_wait_xcnt 0x0
	s_or_b32 exec_lo, exec_lo, s33
	s_wait_loadcnt 0x0
	v_readfirstlane_b32 s31, v6
	s_delay_alu instid0(VALU_DEP_1) | instskip(SKIP_1) | instid1(VALU_DEP_1)
	v_dual_add_nc_u32 v7, -1, v4 :: v_dual_add_nc_u32 v5, s31, v5
	s_mov_b32 s31, exec_lo
	v_and_b32_e32 v6, 0xff, v5
	s_delay_alu instid0(VALU_DEP_1)
	v_cmpx_ne_u32_e64 v6, v7
	s_xor_b32 s31, exec_lo, s31
	s_cbranch_execz .LBB3_40
; %bb.37:                               ;   in Loop: Header=BB3_3 Depth=1
	s_mov_b32 s33, 0
.LBB3_38:                               ;   Parent Loop BB3_3 Depth=1
                                        ; =>  This Inner Loop Header: Depth=2
	s_sleep 2
	global_load_b32 v4, v[0:1], off scope:SCOPE_SYS
	s_wait_loadcnt 0x0
	v_xor_b32_e32 v4, v4, v5
	s_delay_alu instid0(VALU_DEP_1)
	v_cmp_lt_u32_e32 vcc_lo, 0xff, v4
	s_or_b32 s33, vcc_lo, s33
	s_wait_xcnt 0x0
	s_and_not1_b32 exec_lo, exec_lo, s33
	s_cbranch_execnz .LBB3_38
; %bb.39:                               ;   in Loop: Header=BB3_3 Depth=1
	s_or_b32 exec_lo, exec_lo, s33
                                        ; implicit-def: $vgpr4
                                        ; implicit-def: $vgpr0_vgpr1
.LBB3_40:                               ;   in Loop: Header=BB3_3 Depth=1
	s_and_not1_saveexec_b32 s31, s31
	s_cbranch_execz .LBB3_43
; %bb.41:                               ;   in Loop: Header=BB3_3 Depth=1
	s_mov_b32 s31, exec_lo
	s_delay_alu instid0(SALU_CYCLE_1) | instskip(NEXT) | instid1(VALU_DEP_1)
	v_mbcnt_lo_u32_b32 v5, s31, 0
	v_cmp_eq_u32_e32 vcc_lo, 0, v5
	s_and_b32 s33, exec_lo, vcc_lo
	s_delay_alu instid0(SALU_CYCLE_1)
	s_mov_b32 exec_lo, s33
	s_cbranch_execz .LBB3_43
; %bb.42:                               ;   in Loop: Header=BB3_3 Depth=1
	v_sub_nc_u32_e32 v4, 0x100, v4
	s_bcnt1_i32_b32 s31, s31
	s_delay_alu instid0(VALU_DEP_1) | instid1(SALU_CYCLE_1)
	v_mul_lo_u32 v4, v4, s31
	global_atomic_add_u32 v[0:1], v4, off scope:SCOPE_SYS
.LBB3_43:                               ;   in Loop: Header=BB3_3 Depth=1
	s_wait_xcnt 0x0
	s_or_b32 exec_lo, exec_lo, s19
	s_and_saveexec_b32 s19, s1
	s_cbranch_execz .LBB3_52
; %bb.44:                               ;   in Loop: Header=BB3_3 Depth=1
	s_mov_b32 s33, exec_lo
	s_mov_b32 s31, exec_lo
	v_mbcnt_lo_u32_b32 v0, s33, 0
                                        ; implicit-def: $vgpr1
	s_delay_alu instid0(VALU_DEP_1)
	v_cmpx_eq_u32_e32 0, v0
	s_cbranch_execz .LBB3_46
; %bb.45:                               ;   in Loop: Header=BB3_3 Depth=1
	s_bcnt1_i32_b32 s33, s33
	s_delay_alu instid0(SALU_CYCLE_1)
	v_mov_b32_e32 v1, s33
	global_atomic_add_u32 v1, v2, v1, s[22:23] offset:32 th:TH_ATOMIC_RETURN scope:SCOPE_DEV
.LBB3_46:                               ;   in Loop: Header=BB3_3 Depth=1
	s_wait_xcnt 0x0
	s_or_b32 exec_lo, exec_lo, s31
	s_wait_loadcnt 0x0
	v_readfirstlane_b32 s31, v1
	s_delay_alu instid0(VALU_DEP_1) | instskip(SKIP_1) | instid1(VALU_DEP_1)
	v_add_nc_u32_e32 v0, s31, v0
	s_add_co_i32 s31, s18, -1
	v_and_b32_e32 v1, 0xffff, v0
	s_delay_alu instid0(VALU_DEP_1)
	v_cmp_eq_u32_e32 vcc_lo, s31, v1
	s_and_saveexec_b32 s31, vcc_lo
	s_cbranch_execz .LBB3_49
; %bb.47:                               ;   in Loop: Header=BB3_3 Depth=1
	s_mov_b32 s33, exec_lo
	s_delay_alu instid0(SALU_CYCLE_1) | instskip(NEXT) | instid1(VALU_DEP_1)
	v_mbcnt_lo_u32_b32 v1, s33, 0
	v_cmp_eq_u32_e32 vcc_lo, 0, v1
	s_and_b32 s34, exec_lo, vcc_lo
	s_delay_alu instid0(SALU_CYCLE_1)
	s_mov_b32 exec_lo, s34
	s_cbranch_execz .LBB3_49
; %bb.48:                               ;   in Loop: Header=BB3_3 Depth=1
	s_sub_co_i32 s18, 0x10000, s18
	s_bcnt1_i32_b32 s33, s33
	s_delay_alu instid0(SALU_CYCLE_1) | instskip(NEXT) | instid1(SALU_CYCLE_1)
	s_mul_i32 s18, s18, s33
	v_mov_b32_e32 v1, s18
	global_atomic_add_u32 v2, v1, s[22:23] offset:32 scope:SCOPE_DEV
.LBB3_49:                               ;   in Loop: Header=BB3_3 Depth=1
	s_wait_xcnt 0x0
	s_or_b32 exec_lo, exec_lo, s31
	global_load_b32 v1, v2, s[22:23] offset:32 scope:SCOPE_DEV
	v_and_b32_e32 v0, 0xffff0000, v0
	s_wait_loadcnt 0x0
	v_and_b32_e32 v1, 0xffff0000, v1
	s_delay_alu instid0(VALU_DEP_1)
	v_cmp_eq_u32_e32 vcc_lo, v1, v0
	s_wait_xcnt 0x0
	s_and_b32 exec_lo, exec_lo, vcc_lo
	s_cbranch_execz .LBB3_52
; %bb.50:                               ;   in Loop: Header=BB3_3 Depth=1
	s_mov_b32 s18, 0
.LBB3_51:                               ;   Parent Loop BB3_3 Depth=1
                                        ; =>  This Inner Loop Header: Depth=2
	s_sleep 1
	global_load_b32 v1, v2, s[22:23] offset:32 scope:SCOPE_DEV
	s_wait_loadcnt 0x0
	v_and_b32_e32 v1, 0xffff0000, v1
	s_delay_alu instid0(VALU_DEP_1)
	v_cmp_ne_u32_e32 vcc_lo, v1, v0
	s_or_b32 s18, vcc_lo, s18
	s_wait_xcnt 0x0
	s_and_not1_b32 exec_lo, exec_lo, s18
	s_cbranch_execnz .LBB3_51
.LBB3_52:                               ;   in Loop: Header=BB3_3 Depth=1
	s_or_b32 exec_lo, exec_lo, s19
	s_barrier_signal -1
	s_barrier_wait -1
	global_load_b32 v0, v2, s[10:11]
	s_add_co_i32 s18, s20, s24
	s_delay_alu instid0(SALU_CYCLE_1)
	v_mov_b32_e32 v1, s18
	s_wait_loadcnt 0x0
	global_store_b32 v1, v0, s[8:9] scale_offset
	global_wb scope:SCOPE_SYS
	s_wait_storecnt 0x0
	global_inv scope:SCOPE_SYS
	s_barrier_signal -1
	s_barrier_wait -1
	global_load_b32 v0, v2, s[22:23] offset:40
	s_wait_loadcnt 0x0
	v_readfirstlane_b32 s18, v0
	s_and_saveexec_b32 s19, s1
	s_cbranch_execz .LBB3_61
; %bb.53:                               ;   in Loop: Header=BB3_3 Depth=1
	s_mov_b32 s33, exec_lo
	s_mov_b32 s31, exec_lo
	v_mbcnt_lo_u32_b32 v0, s33, 0
                                        ; implicit-def: $vgpr1
	s_delay_alu instid0(VALU_DEP_1)
	v_cmpx_eq_u32_e32 0, v0
	s_cbranch_execz .LBB3_55
; %bb.54:                               ;   in Loop: Header=BB3_3 Depth=1
	s_bcnt1_i32_b32 s33, s33
	s_delay_alu instid0(SALU_CYCLE_1)
	v_mov_b32_e32 v1, s33
	global_atomic_add_u32 v1, v2, v1, s[22:23] offset:32 th:TH_ATOMIC_RETURN scope:SCOPE_DEV
.LBB3_55:                               ;   in Loop: Header=BB3_3 Depth=1
	s_wait_xcnt 0x0
	s_or_b32 exec_lo, exec_lo, s31
	s_wait_loadcnt 0x0
	v_readfirstlane_b32 s31, v1
	s_delay_alu instid0(VALU_DEP_1) | instskip(SKIP_1) | instid1(VALU_DEP_1)
	v_add_nc_u32_e32 v0, s31, v0
	s_add_co_i32 s31, s18, -1
	v_and_b32_e32 v1, 0xffff, v0
	s_delay_alu instid0(VALU_DEP_1)
	v_cmp_eq_u32_e32 vcc_lo, s31, v1
	s_and_saveexec_b32 s31, vcc_lo
	s_cbranch_execz .LBB3_58
; %bb.56:                               ;   in Loop: Header=BB3_3 Depth=1
	s_mov_b32 s33, exec_lo
	s_delay_alu instid0(SALU_CYCLE_1) | instskip(NEXT) | instid1(VALU_DEP_1)
	v_mbcnt_lo_u32_b32 v1, s33, 0
	v_cmp_eq_u32_e32 vcc_lo, 0, v1
	s_and_b32 s34, exec_lo, vcc_lo
	s_delay_alu instid0(SALU_CYCLE_1)
	s_mov_b32 exec_lo, s34
	s_cbranch_execz .LBB3_58
; %bb.57:                               ;   in Loop: Header=BB3_3 Depth=1
	s_sub_co_i32 s34, 0x10000, s18
	s_bcnt1_i32_b32 s33, s33
	s_delay_alu instid0(SALU_CYCLE_1) | instskip(NEXT) | instid1(SALU_CYCLE_1)
	s_mul_i32 s33, s34, s33
	v_mov_b32_e32 v1, s33
	global_atomic_add_u32 v2, v1, s[22:23] offset:32 scope:SCOPE_DEV
.LBB3_58:                               ;   in Loop: Header=BB3_3 Depth=1
	s_wait_xcnt 0x0
	s_or_b32 exec_lo, exec_lo, s31
	global_load_b32 v1, v2, s[22:23] offset:32 scope:SCOPE_DEV
	v_and_b32_e32 v0, 0xffff0000, v0
	s_wait_loadcnt 0x0
	v_and_b32_e32 v1, 0xffff0000, v1
	s_delay_alu instid0(VALU_DEP_1)
	v_cmp_eq_u32_e32 vcc_lo, v1, v0
	s_wait_xcnt 0x0
	s_and_b32 exec_lo, exec_lo, vcc_lo
	s_cbranch_execz .LBB3_61
; %bb.59:                               ;   in Loop: Header=BB3_3 Depth=1
	s_mov_b32 s31, 0
.LBB3_60:                               ;   Parent Loop BB3_3 Depth=1
                                        ; =>  This Inner Loop Header: Depth=2
	s_sleep 1
	global_load_b32 v1, v2, s[22:23] offset:32 scope:SCOPE_DEV
	s_wait_loadcnt 0x0
	v_and_b32_e32 v1, 0xffff0000, v1
	s_delay_alu instid0(VALU_DEP_1)
	v_cmp_ne_u32_e32 vcc_lo, v1, v0
	s_or_b32 s31, vcc_lo, s31
	s_wait_xcnt 0x0
	s_and_not1_b32 exec_lo, exec_lo, s31
	s_cbranch_execnz .LBB3_60
.LBB3_61:                               ;   in Loop: Header=BB3_3 Depth=1
	s_or_b32 exec_lo, exec_lo, s19
	s_and_saveexec_b32 s19, s2
	s_cbranch_execz .LBB3_71
; %bb.62:                               ;   in Loop: Header=BB3_3 Depth=1
	s_clause 0x1
	global_load_b64 v[0:1], v2, s[22:23]
	global_load_b32 v4, v2, s[22:23] offset:12
	s_mov_b32 s31, exec_lo
	s_mov_b32 s33, exec_lo
	v_mbcnt_lo_u32_b32 v5, s31, 0
                                        ; implicit-def: $vgpr6
	s_wait_xcnt 0x0
	s_delay_alu instid0(VALU_DEP_1)
	v_cmpx_eq_u32_e32 0, v5
	s_cbranch_execz .LBB3_64
; %bb.63:                               ;   in Loop: Header=BB3_3 Depth=1
	s_bcnt1_i32_b32 s31, s31
	s_delay_alu instid0(SALU_CYCLE_1)
	v_mov_b32_e32 v6, s31
	s_wait_loadcnt 0x1
	global_atomic_add_u32 v6, v[0:1], v6, off th:TH_ATOMIC_RETURN scope:SCOPE_SYS
.LBB3_64:                               ;   in Loop: Header=BB3_3 Depth=1
	s_wait_xcnt 0x0
	s_or_b32 exec_lo, exec_lo, s33
	s_wait_loadcnt 0x0
	v_readfirstlane_b32 s31, v6
	s_delay_alu instid0(VALU_DEP_1) | instskip(SKIP_1) | instid1(VALU_DEP_1)
	v_dual_add_nc_u32 v7, -1, v4 :: v_dual_add_nc_u32 v5, s31, v5
	s_mov_b32 s31, exec_lo
	v_and_b32_e32 v6, 0xff, v5
	s_delay_alu instid0(VALU_DEP_1)
	v_cmpx_ne_u32_e64 v6, v7
	s_xor_b32 s31, exec_lo, s31
	s_cbranch_execz .LBB3_68
; %bb.65:                               ;   in Loop: Header=BB3_3 Depth=1
	s_mov_b32 s33, 0
.LBB3_66:                               ;   Parent Loop BB3_3 Depth=1
                                        ; =>  This Inner Loop Header: Depth=2
	s_sleep 2
	global_load_b32 v4, v[0:1], off scope:SCOPE_SYS
	s_wait_loadcnt 0x0
	v_xor_b32_e32 v4, v4, v5
	s_delay_alu instid0(VALU_DEP_1)
	v_cmp_lt_u32_e32 vcc_lo, 0xff, v4
	s_or_b32 s33, vcc_lo, s33
	s_wait_xcnt 0x0
	s_and_not1_b32 exec_lo, exec_lo, s33
	s_cbranch_execnz .LBB3_66
; %bb.67:                               ;   in Loop: Header=BB3_3 Depth=1
	s_or_b32 exec_lo, exec_lo, s33
                                        ; implicit-def: $vgpr4
                                        ; implicit-def: $vgpr0_vgpr1
.LBB3_68:                               ;   in Loop: Header=BB3_3 Depth=1
	s_and_not1_saveexec_b32 s31, s31
	s_cbranch_execz .LBB3_71
; %bb.69:                               ;   in Loop: Header=BB3_3 Depth=1
	s_mov_b32 s31, exec_lo
	s_delay_alu instid0(SALU_CYCLE_1) | instskip(NEXT) | instid1(VALU_DEP_1)
	v_mbcnt_lo_u32_b32 v5, s31, 0
	v_cmp_eq_u32_e32 vcc_lo, 0, v5
	s_and_b32 s33, exec_lo, vcc_lo
	s_delay_alu instid0(SALU_CYCLE_1)
	s_mov_b32 exec_lo, s33
	s_cbranch_execz .LBB3_71
; %bb.70:                               ;   in Loop: Header=BB3_3 Depth=1
	v_sub_nc_u32_e32 v4, 0x100, v4
	s_bcnt1_i32_b32 s31, s31
	s_delay_alu instid0(VALU_DEP_1) | instid1(SALU_CYCLE_1)
	v_mul_lo_u32 v4, v4, s31
	global_atomic_add_u32 v[0:1], v4, off scope:SCOPE_SYS
.LBB3_71:                               ;   in Loop: Header=BB3_3 Depth=1
	s_wait_xcnt 0x0
	s_or_b32 exec_lo, exec_lo, s19
	s_and_saveexec_b32 s19, s1
	s_cbranch_execz .LBB3_2
; %bb.72:                               ;   in Loop: Header=BB3_3 Depth=1
	s_mov_b32 s33, exec_lo
	s_mov_b32 s31, exec_lo
	v_mbcnt_lo_u32_b32 v0, s33, 0
                                        ; implicit-def: $vgpr1
	s_delay_alu instid0(VALU_DEP_1)
	v_cmpx_eq_u32_e32 0, v0
	s_cbranch_execz .LBB3_74
; %bb.73:                               ;   in Loop: Header=BB3_3 Depth=1
	s_bcnt1_i32_b32 s33, s33
	s_delay_alu instid0(SALU_CYCLE_1)
	v_mov_b32_e32 v1, s33
	global_atomic_add_u32 v1, v2, v1, s[22:23] offset:32 th:TH_ATOMIC_RETURN scope:SCOPE_DEV
.LBB3_74:                               ;   in Loop: Header=BB3_3 Depth=1
	s_wait_xcnt 0x0
	s_or_b32 exec_lo, exec_lo, s31
	s_wait_loadcnt 0x0
	v_readfirstlane_b32 s31, v1
	s_delay_alu instid0(VALU_DEP_1) | instskip(SKIP_1) | instid1(VALU_DEP_1)
	v_add_nc_u32_e32 v0, s31, v0
	s_add_co_i32 s31, s18, -1
	v_and_b32_e32 v1, 0xffff, v0
	s_delay_alu instid0(VALU_DEP_1)
	v_cmp_eq_u32_e32 vcc_lo, s31, v1
	s_and_saveexec_b32 s31, vcc_lo
	s_cbranch_execz .LBB3_77
; %bb.75:                               ;   in Loop: Header=BB3_3 Depth=1
	s_mov_b32 s33, exec_lo
	s_delay_alu instid0(SALU_CYCLE_1) | instskip(NEXT) | instid1(VALU_DEP_1)
	v_mbcnt_lo_u32_b32 v1, s33, 0
	v_cmp_eq_u32_e32 vcc_lo, 0, v1
	s_and_b32 s34, exec_lo, vcc_lo
	s_delay_alu instid0(SALU_CYCLE_1)
	s_mov_b32 exec_lo, s34
	s_cbranch_execz .LBB3_77
; %bb.76:                               ;   in Loop: Header=BB3_3 Depth=1
	s_sub_co_i32 s18, 0x10000, s18
	s_bcnt1_i32_b32 s33, s33
	s_delay_alu instid0(SALU_CYCLE_1) | instskip(NEXT) | instid1(SALU_CYCLE_1)
	s_mul_i32 s18, s18, s33
	v_mov_b32_e32 v1, s18
	global_atomic_add_u32 v2, v1, s[22:23] offset:32 scope:SCOPE_DEV
.LBB3_77:                               ;   in Loop: Header=BB3_3 Depth=1
	s_wait_xcnt 0x0
	s_or_b32 exec_lo, exec_lo, s31
	global_load_b32 v1, v2, s[22:23] offset:32 scope:SCOPE_DEV
	v_and_b32_e32 v0, 0xffff0000, v0
	s_wait_loadcnt 0x0
	v_and_b32_e32 v1, 0xffff0000, v1
	s_delay_alu instid0(VALU_DEP_1)
	v_cmp_eq_u32_e32 vcc_lo, v1, v0
	s_wait_xcnt 0x0
	s_and_b32 exec_lo, exec_lo, vcc_lo
	s_cbranch_execz .LBB3_2
; %bb.78:                               ;   in Loop: Header=BB3_3 Depth=1
	s_mov_b32 s18, 0
.LBB3_79:                               ;   Parent Loop BB3_3 Depth=1
                                        ; =>  This Inner Loop Header: Depth=2
	s_sleep 1
	global_load_b32 v1, v2, s[22:23] offset:32 scope:SCOPE_DEV
	s_wait_loadcnt 0x0
	v_and_b32_e32 v1, 0xffff0000, v1
	s_delay_alu instid0(VALU_DEP_1)
	v_cmp_ne_u32_e32 vcc_lo, v1, v0
	s_or_b32 s18, vcc_lo, s18
	s_wait_xcnt 0x0
	s_and_not1_b32 exec_lo, exec_lo, s18
	s_cbranch_execnz .LBB3_79
	s_branch .LBB3_2
.LBB3_80:
	s_endpgm
	.section	.rodata,"a",@progbits
	.p2align	6, 0x0
	.amdhsa_kernel _Z11test_kernelPjS_jS_S_S_S_
		.amdhsa_group_segment_fixed_size 0
		.amdhsa_private_segment_fixed_size 0
		.amdhsa_kernarg_size 312
		.amdhsa_user_sgpr_count 2
		.amdhsa_user_sgpr_dispatch_ptr 0
		.amdhsa_user_sgpr_queue_ptr 0
		.amdhsa_user_sgpr_kernarg_segment_ptr 1
		.amdhsa_user_sgpr_dispatch_id 0
		.amdhsa_user_sgpr_kernarg_preload_length 0
		.amdhsa_user_sgpr_kernarg_preload_offset 0
		.amdhsa_user_sgpr_private_segment_size 0
		.amdhsa_wavefront_size32 1
		.amdhsa_uses_dynamic_stack 0
		.amdhsa_enable_private_segment 0
		.amdhsa_system_sgpr_workgroup_id_x 1
		.amdhsa_system_sgpr_workgroup_id_y 1
		.amdhsa_system_sgpr_workgroup_id_z 1
		.amdhsa_system_sgpr_workgroup_info 0
		.amdhsa_system_vgpr_workitem_id 2
		.amdhsa_next_free_vgpr 8
		.amdhsa_next_free_sgpr 36
		.amdhsa_named_barrier_count 0
		.amdhsa_reserve_vcc 1
		.amdhsa_float_round_mode_32 0
		.amdhsa_float_round_mode_16_64 0
		.amdhsa_float_denorm_mode_32 3
		.amdhsa_float_denorm_mode_16_64 3
		.amdhsa_fp16_overflow 0
		.amdhsa_memory_ordered 1
		.amdhsa_forward_progress 1
		.amdhsa_inst_pref_size 26
		.amdhsa_round_robin_scheduling 0
		.amdhsa_exception_fp_ieee_invalid_op 0
		.amdhsa_exception_fp_denorm_src 0
		.amdhsa_exception_fp_ieee_div_zero 0
		.amdhsa_exception_fp_ieee_overflow 0
		.amdhsa_exception_fp_ieee_underflow 0
		.amdhsa_exception_fp_ieee_inexact 0
		.amdhsa_exception_int_div_zero 0
	.end_amdhsa_kernel
	.text
.Lfunc_end3:
	.size	_Z11test_kernelPjS_jS_S_S_S_, .Lfunc_end3-_Z11test_kernelPjS_jS_S_S_S_
                                        ; -- End function
	.set _Z11test_kernelPjS_jS_S_S_S_.num_vgpr, 8
	.set _Z11test_kernelPjS_jS_S_S_S_.num_agpr, 0
	.set _Z11test_kernelPjS_jS_S_S_S_.numbered_sgpr, 36
	.set _Z11test_kernelPjS_jS_S_S_S_.num_named_barrier, 0
	.set _Z11test_kernelPjS_jS_S_S_S_.private_seg_size, 0
	.set _Z11test_kernelPjS_jS_S_S_S_.uses_vcc, 1
	.set _Z11test_kernelPjS_jS_S_S_S_.uses_flat_scratch, 0
	.set _Z11test_kernelPjS_jS_S_S_S_.has_dyn_sized_stack, 0
	.set _Z11test_kernelPjS_jS_S_S_S_.has_recursion, 0
	.set _Z11test_kernelPjS_jS_S_S_S_.has_indirect_call, 0
	.section	.AMDGPU.csdata,"",@progbits
; Kernel info:
; codeLenInByte = 3284
; TotalNumSgprs: 38
; NumVgprs: 8
; ScratchSize: 0
; MemoryBound: 0
; FloatMode: 240
; IeeeMode: 1
; LDSByteSize: 0 bytes/workgroup (compile time only)
; SGPRBlocks: 0
; VGPRBlocks: 0
; NumSGPRsForWavesPerEU: 38
; NumVGPRsForWavesPerEU: 8
; NamedBarCnt: 0
; Occupancy: 16
; WaveLimiterHint : 1
; COMPUTE_PGM_RSRC2:SCRATCH_EN: 0
; COMPUTE_PGM_RSRC2:USER_SGPR: 2
; COMPUTE_PGM_RSRC2:TRAP_HANDLER: 0
; COMPUTE_PGM_RSRC2:TGID_X_EN: 1
; COMPUTE_PGM_RSRC2:TGID_Y_EN: 1
; COMPUTE_PGM_RSRC2:TGID_Z_EN: 1
; COMPUTE_PGM_RSRC2:TIDIG_COMP_CNT: 2
	.text
	.p2alignl 7, 3214868480
	.fill 96, 4, 3214868480
	.section	.AMDGPU.gpr_maximums,"",@progbits
	.set amdgpu.max_num_vgpr, 0
	.set amdgpu.max_num_agpr, 0
	.set amdgpu.max_num_sgpr, 0
	.text
	.type	__hip_cuid_f4f89843c126e712,@object ; @__hip_cuid_f4f89843c126e712
	.section	.bss,"aw",@nobits
	.globl	__hip_cuid_f4f89843c126e712
__hip_cuid_f4f89843c126e712:
	.byte	0                               ; 0x0
	.size	__hip_cuid_f4f89843c126e712, 1

	.ident	"AMD clang version 22.0.0git (https://github.com/RadeonOpenCompute/llvm-project roc-7.2.4 26084 f58b06dce1f9c15707c5f808fd002e18c2accf7e)"
	.section	".note.GNU-stack","",@progbits
	.addrsig
	.addrsig_sym __hip_cuid_f4f89843c126e712
	.amdgpu_metadata
---
amdhsa.kernels:
  - .args:
      - .address_space:  global
        .offset:         0
        .size:           8
        .value_kind:     global_buffer
      - .address_space:  global
        .offset:         8
        .size:           8
        .value_kind:     global_buffer
      - .address_space:  global
        .offset:         16
        .size:           8
        .value_kind:     global_buffer
      - .address_space:  global
        .offset:         24
        .size:           8
        .value_kind:     global_buffer
      - .address_space:  global
        .offset:         32
        .size:           8
        .value_kind:     global_buffer
      - .address_space:  global
        .offset:         40
        .size:           8
        .value_kind:     global_buffer
      - .address_space:  global
        .offset:         48
        .size:           8
        .value_kind:     global_buffer
      - .offset:         56
        .size:           4
        .value_kind:     hidden_block_count_x
      - .offset:         60
        .size:           4
        .value_kind:     hidden_block_count_y
      - .offset:         64
        .size:           4
        .value_kind:     hidden_block_count_z
      - .offset:         68
        .size:           2
        .value_kind:     hidden_group_size_x
      - .offset:         70
        .size:           2
        .value_kind:     hidden_group_size_y
      - .offset:         72
        .size:           2
        .value_kind:     hidden_group_size_z
      - .offset:         74
        .size:           2
        .value_kind:     hidden_remainder_x
      - .offset:         76
        .size:           2
        .value_kind:     hidden_remainder_y
      - .offset:         78
        .size:           2
        .value_kind:     hidden_remainder_z
      - .offset:         96
        .size:           8
        .value_kind:     hidden_global_offset_x
      - .offset:         104
        .size:           8
        .value_kind:     hidden_global_offset_y
      - .offset:         112
        .size:           8
        .value_kind:     hidden_global_offset_z
      - .offset:         120
        .size:           2
        .value_kind:     hidden_grid_dims
      - .offset:         144
        .size:           8
        .value_kind:     hidden_multigrid_sync_arg
    .group_segment_fixed_size: 0
    .kernarg_segment_align: 8
    .kernarg_segment_size: 312
    .language:       OpenCL C
    .language_version:
      - 2
      - 0
    .max_flat_workgroup_size: 1024
    .name:           _ZL31kernel_cg_multi_grid_group_typePiS_S_S_S_S_S_
    .private_segment_fixed_size: 0
    .sgpr_count:     32
    .sgpr_spill_count: 0
    .symbol:         _ZL31kernel_cg_multi_grid_group_typePiS_S_S_S_S_S_.kd
    .uniform_work_group_size: 1
    .uses_dynamic_stack: false
    .vgpr_count:     14
    .vgpr_spill_count: 0
    .wavefront_size: 32
  - .args:
      - .address_space:  global
        .offset:         0
        .size:           8
        .value_kind:     global_buffer
      - .address_space:  global
        .offset:         8
        .size:           8
        .value_kind:     global_buffer
      - .address_space:  global
        .offset:         16
        .size:           8
        .value_kind:     global_buffer
      - .address_space:  global
        .offset:         24
        .size:           8
        .value_kind:     global_buffer
      - .address_space:  global
        .offset:         32
        .size:           8
        .value_kind:     global_buffer
      - .address_space:  global
        .offset:         40
        .size:           8
        .value_kind:     global_buffer
      - .offset:         48
        .size:           4
        .value_kind:     hidden_block_count_x
      - .offset:         52
        .size:           4
        .value_kind:     hidden_block_count_y
      - .offset:         56
        .size:           4
        .value_kind:     hidden_block_count_z
      - .offset:         60
        .size:           2
        .value_kind:     hidden_group_size_x
      - .offset:         62
        .size:           2
        .value_kind:     hidden_group_size_y
      - .offset:         64
        .size:           2
        .value_kind:     hidden_group_size_z
      - .offset:         66
        .size:           2
        .value_kind:     hidden_remainder_x
      - .offset:         68
        .size:           2
        .value_kind:     hidden_remainder_y
      - .offset:         70
        .size:           2
        .value_kind:     hidden_remainder_z
      - .offset:         88
        .size:           8
        .value_kind:     hidden_global_offset_x
      - .offset:         96
        .size:           8
        .value_kind:     hidden_global_offset_y
      - .offset:         104
        .size:           8
        .value_kind:     hidden_global_offset_z
      - .offset:         112
        .size:           2
        .value_kind:     hidden_grid_dims
      - .offset:         136
        .size:           8
        .value_kind:     hidden_multigrid_sync_arg
    .group_segment_fixed_size: 0
    .kernarg_segment_align: 8
    .kernarg_segment_size: 304
    .language:       OpenCL C
    .language_version:
      - 2
      - 0
    .max_flat_workgroup_size: 1024
    .name:           _ZL45kernel_cg_multi_grid_group_type_via_base_typePiS_S_S_S_S_
    .private_segment_fixed_size: 0
    .sgpr_count:     28
    .sgpr_spill_count: 0
    .symbol:         _ZL45kernel_cg_multi_grid_group_type_via_base_typePiS_S_S_S_S_.kd
    .uniform_work_group_size: 1
    .uses_dynamic_stack: false
    .vgpr_count:     14
    .vgpr_spill_count: 0
    .wavefront_size: 32
  - .args:
      - .address_space:  global
        .offset:         0
        .size:           8
        .value_kind:     global_buffer
      - .address_space:  global
        .offset:         8
        .size:           8
        .value_kind:     global_buffer
      - .address_space:  global
        .offset:         16
        .size:           8
        .value_kind:     global_buffer
      - .address_space:  global
        .offset:         24
        .size:           8
        .value_kind:     global_buffer
      - .address_space:  global
        .offset:         32
        .size:           8
        .value_kind:     global_buffer
      - .address_space:  global
        .offset:         40
        .size:           8
        .value_kind:     global_buffer
      - .offset:         48
        .size:           4
        .value_kind:     hidden_block_count_x
      - .offset:         52
        .size:           4
        .value_kind:     hidden_block_count_y
      - .offset:         56
        .size:           4
        .value_kind:     hidden_block_count_z
      - .offset:         60
        .size:           2
        .value_kind:     hidden_group_size_x
      - .offset:         62
        .size:           2
        .value_kind:     hidden_group_size_y
      - .offset:         64
        .size:           2
        .value_kind:     hidden_group_size_z
      - .offset:         66
        .size:           2
        .value_kind:     hidden_remainder_x
      - .offset:         68
        .size:           2
        .value_kind:     hidden_remainder_y
      - .offset:         70
        .size:           2
        .value_kind:     hidden_remainder_z
      - .offset:         88
        .size:           8
        .value_kind:     hidden_global_offset_x
      - .offset:         96
        .size:           8
        .value_kind:     hidden_global_offset_y
      - .offset:         104
        .size:           8
        .value_kind:     hidden_global_offset_z
      - .offset:         112
        .size:           2
        .value_kind:     hidden_grid_dims
      - .offset:         136
        .size:           8
        .value_kind:     hidden_multigrid_sync_arg
    .group_segment_fixed_size: 0
    .kernarg_segment_align: 8
    .kernarg_segment_size: 304
    .language:       OpenCL C
    .language_version:
      - 2
      - 0
    .max_flat_workgroup_size: 1024
    .name:           _ZL46kernel_cg_multi_grid_group_type_via_public_apiPiS_S_S_S_S_
    .private_segment_fixed_size: 0
    .sgpr_count:     28
    .sgpr_spill_count: 0
    .symbol:         _ZL46kernel_cg_multi_grid_group_type_via_public_apiPiS_S_S_S_S_.kd
    .uniform_work_group_size: 1
    .uses_dynamic_stack: false
    .vgpr_count:     14
    .vgpr_spill_count: 0
    .wavefront_size: 32
  - .args:
      - .address_space:  global
        .offset:         0
        .size:           8
        .value_kind:     global_buffer
      - .address_space:  global
        .offset:         8
        .size:           8
        .value_kind:     global_buffer
      - .offset:         16
        .size:           4
        .value_kind:     by_value
      - .address_space:  global
        .offset:         24
        .size:           8
        .value_kind:     global_buffer
      - .address_space:  global
        .offset:         32
        .size:           8
        .value_kind:     global_buffer
      - .address_space:  global
        .offset:         40
        .size:           8
        .value_kind:     global_buffer
      - .address_space:  global
        .offset:         48
        .size:           8
        .value_kind:     global_buffer
      - .offset:         56
        .size:           4
        .value_kind:     hidden_block_count_x
      - .offset:         60
        .size:           4
        .value_kind:     hidden_block_count_y
      - .offset:         64
        .size:           4
        .value_kind:     hidden_block_count_z
      - .offset:         68
        .size:           2
        .value_kind:     hidden_group_size_x
      - .offset:         70
        .size:           2
        .value_kind:     hidden_group_size_y
      - .offset:         72
        .size:           2
        .value_kind:     hidden_group_size_z
      - .offset:         74
        .size:           2
        .value_kind:     hidden_remainder_x
      - .offset:         76
        .size:           2
        .value_kind:     hidden_remainder_y
      - .offset:         78
        .size:           2
        .value_kind:     hidden_remainder_z
      - .offset:         96
        .size:           8
        .value_kind:     hidden_global_offset_x
      - .offset:         104
        .size:           8
        .value_kind:     hidden_global_offset_y
      - .offset:         112
        .size:           8
        .value_kind:     hidden_global_offset_z
      - .offset:         120
        .size:           2
        .value_kind:     hidden_grid_dims
      - .offset:         144
        .size:           8
        .value_kind:     hidden_multigrid_sync_arg
    .group_segment_fixed_size: 0
    .kernarg_segment_align: 8
    .kernarg_segment_size: 312
    .language:       OpenCL C
    .language_version:
      - 2
      - 0
    .max_flat_workgroup_size: 1024
    .name:           _Z11test_kernelPjS_jS_S_S_S_
    .private_segment_fixed_size: 0
    .sgpr_count:     38
    .sgpr_spill_count: 0
    .symbol:         _Z11test_kernelPjS_jS_S_S_S_.kd
    .uniform_work_group_size: 1
    .uses_dynamic_stack: false
    .vgpr_count:     8
    .vgpr_spill_count: 0
    .wavefront_size: 32
amdhsa.target:   amdgcn-amd-amdhsa--gfx1250
amdhsa.version:
  - 1
  - 2
...

	.end_amdgpu_metadata
